;; amdgpu-corpus repo=ROCm/rocFFT kind=compiled arch=gfx906 opt=O3
	.text
	.amdgcn_target "amdgcn-amd-amdhsa--gfx906"
	.amdhsa_code_object_version 6
	.protected	bluestein_single_back_len39_dim1_half_op_CI_CI ; -- Begin function bluestein_single_back_len39_dim1_half_op_CI_CI
	.globl	bluestein_single_back_len39_dim1_half_op_CI_CI
	.p2align	8
	.type	bluestein_single_back_len39_dim1_half_op_CI_CI,@function
bluestein_single_back_len39_dim1_half_op_CI_CI: ; @bluestein_single_back_len39_dim1_half_op_CI_CI
; %bb.0:
	v_mul_u32_u24_e32 v1, 0x13b2, v0
	s_load_dwordx4 s[0:3], s[4:5], 0x28
	v_lshrrev_b32_e32 v3, 16, v1
	v_mad_u64_u32 v[1:2], s[6:7], s6, 19, v[3:4]
	v_mov_b32_e32 v2, 0
	s_waitcnt lgkmcnt(0)
	v_cmp_gt_u64_e32 vcc, s[0:1], v[1:2]
	s_and_saveexec_b64 s[0:1], vcc
	s_cbranch_execz .LBB0_15
; %bb.1:
	s_mov_b32 s0, 0xaf286bcb
	v_mul_hi_u32 v2, v1, s0
	s_load_dwordx2 s[6:7], s[4:5], 0x0
	s_load_dwordx2 s[12:13], s[4:5], 0x38
	v_mul_lo_u16_e32 v3, 13, v3
	v_sub_u16_e32 v25, v0, v3
	v_sub_u32_e32 v4, v1, v2
	v_lshrrev_b32_e32 v4, 1, v4
	v_add_u32_e32 v2, v4, v2
	v_lshrrev_b32_e32 v2, 4, v2
	v_mul_lo_u32 v2, v2, 19
	v_cmp_gt_u16_e32 vcc, 3, v25
	v_lshlrev_b32_e32 v24, 2, v25
	v_or_b32_e32 v23, 24, v25
	v_sub_u32_e32 v0, v1, v2
	v_mul_u32_u24_e32 v26, 39, v0
	v_lshlrev_b32_e32 v27, 2, v26
	v_or_b32_e32 v0, 12, v25
	v_or_b32_e32 v22, 36, v25
	s_and_saveexec_b64 s[14:15], vcc
	s_cbranch_execz .LBB0_3
; %bb.2:
	s_load_dwordx2 s[0:1], s[4:5], 0x18
	s_waitcnt lgkmcnt(0)
	s_load_dwordx4 s[8:11], s[0:1], 0x0
	s_waitcnt lgkmcnt(0)
	v_mad_u64_u32 v[2:3], s[0:1], s10, v1, 0
	v_mad_u64_u32 v[4:5], s[0:1], s8, v25, 0
	s_mul_hi_u32 s10, s8, 12
	v_mad_u64_u32 v[6:7], s[0:1], s11, v1, v[3:4]
	s_mul_i32 s11, s9, 24
	v_mad_u64_u32 v[7:8], s[0:1], s9, v25, v[5:6]
	v_mov_b32_e32 v3, v6
	v_lshlrev_b64 v[2:3], 2, v[2:3]
	v_mov_b32_e32 v5, v7
	v_mov_b32_e32 v8, s3
	v_lshlrev_b64 v[4:5], 2, v[4:5]
	v_add_co_u32_e64 v11, s[0:1], s2, v2
	v_addc_co_u32_e64 v12, s[0:1], v8, v3, s[0:1]
	v_add_co_u32_e64 v2, s[0:1], v11, v4
	v_addc_co_u32_e64 v3, s[0:1], v12, v5, s[0:1]
	v_mad_u64_u32 v[4:5], s[0:1], s8, v0, 0
	s_mul_i32 s3, s9, 12
	s_mul_i32 s2, s8, 12
	v_mad_u64_u32 v[5:6], s[0:1], s9, v0, v[5:6]
	s_add_i32 s3, s10, s3
	global_load_dword v13, v[2:3], off
	global_load_dword v14, v24, s[6:7]
	global_load_dword v15, v24, s[6:7] offset:12
	global_load_dword v16, v24, s[6:7] offset:24
	;; [unrolled: 1-line block ×7, first 2 shown]
	v_mov_b32_e32 v6, s3
	v_lshlrev_b64 v[4:5], 2, v[4:5]
	v_add_co_u32_e64 v2, s[0:1], s2, v2
	v_addc_co_u32_e64 v3, s[0:1], v3, v6, s[0:1]
	v_add_co_u32_e64 v4, s[0:1], v11, v4
	v_addc_co_u32_e64 v5, s[0:1], v12, v5, s[0:1]
	v_mov_b32_e32 v7, s3
	global_load_dword v28, v[2:3], off
	v_add_co_u32_e64 v2, s[0:1], s2, v2
	v_addc_co_u32_e64 v3, s[0:1], v3, v7, s[0:1]
	v_mov_b32_e32 v8, s3
	global_load_dword v29, v[2:3], off
	v_add_co_u32_e64 v2, s[0:1], s2, v2
	v_addc_co_u32_e64 v3, s[0:1], v3, v8, s[0:1]
	global_load_dword v30, v[4:5], off
	global_load_dword v31, v[2:3], off
	v_mad_u64_u32 v[4:5], s[0:1], s8, v23, 0
	v_mad_u64_u32 v[6:7], s[0:1], s8, v22, 0
	;; [unrolled: 1-line block ×4, first 2 shown]
	v_add_u32_e32 v3, s11, v3
	v_mov_b32_e32 v32, s3
	v_mad_u64_u32 v[9:10], s[0:1], s9, v22, v[7:8]
	v_mov_b32_e32 v5, v8
	global_load_dword v8, v[2:3], off
	v_add_co_u32_e64 v2, s[0:1], s2, v2
	v_addc_co_u32_e64 v3, s[0:1], v3, v32, s[0:1]
	global_load_dword v10, v[2:3], off
	v_mov_b32_e32 v33, s3
	v_lshlrev_b64 v[4:5], 2, v[4:5]
	v_add_co_u32_e64 v2, s[0:1], s2, v2
	v_addc_co_u32_e64 v3, s[0:1], v3, v33, s[0:1]
	v_add_co_u32_e64 v4, s[0:1], v11, v4
	global_load_dword v32, v[2:3], off
	v_addc_co_u32_e64 v5, s[0:1], v12, v5, s[0:1]
	v_mad_u64_u32 v[2:3], s[0:1], s8, 24, v[2:3]
	global_load_dword v33, v[4:5], off
	global_load_dword v36, v24, s[6:7] offset:96
	v_mov_b32_e32 v7, v9
	v_add_u32_e32 v3, s11, v3
	v_lshlrev_b64 v[4:5], 2, v[6:7]
	global_load_dword v6, v24, s[6:7] offset:108
	global_load_dword v7, v[2:3], off
	v_mov_b32_e32 v9, s3
	v_add_co_u32_e64 v2, s[0:1], s2, v2
	v_addc_co_u32_e64 v3, s[0:1], v3, v9, s[0:1]
	global_load_dword v9, v[2:3], off
	global_load_dword v37, v24, s[6:7] offset:120
	v_mov_b32_e32 v38, s3
	v_add_co_u32_e64 v2, s[0:1], s2, v2
	v_addc_co_u32_e64 v3, s[0:1], v3, v38, s[0:1]
	global_load_dword v38, v[2:3], off
	global_load_dword v39, v24, s[6:7] offset:132
	v_add_co_u32_e64 v2, s[0:1], v11, v4
	v_addc_co_u32_e64 v3, s[0:1], v12, v5, s[0:1]
	global_load_dword v4, v[2:3], off
	global_load_dword v5, v24, s[6:7] offset:144
	s_waitcnt vmcnt(25)
	v_lshrrev_b32_e32 v34, 16, v13
	s_waitcnt vmcnt(24)
	v_mul_f16_sdwa v35, v14, v13 dst_sel:DWORD dst_unused:UNUSED_PAD src0_sel:WORD_1 src1_sel:DWORD
	v_mul_f16_sdwa v3, v14, v34 dst_sel:DWORD dst_unused:UNUSED_PAD src0_sel:WORD_1 src1_sel:DWORD
	v_fma_f16 v2, v14, v34, -v35
	v_fma_f16 v3, v14, v13, v3
	v_pack_b32_f16 v2, v3, v2
	v_lshl_add_u32 v3, v25, 2, v27
	ds_write_b32 v3, v2
	s_waitcnt vmcnt(16)
	v_lshrrev_b32_e32 v11, 16, v28
	v_mul_f16_sdwa v12, v15, v28 dst_sel:DWORD dst_unused:UNUSED_PAD src0_sel:WORD_1 src1_sel:DWORD
	v_fma_f16 v12, v15, v11, -v12
	v_mul_f16_sdwa v11, v15, v11 dst_sel:DWORD dst_unused:UNUSED_PAD src0_sel:WORD_1 src1_sel:DWORD
	v_fma_f16 v11, v15, v28, v11
	v_pack_b32_f16 v11, v11, v12
	s_waitcnt vmcnt(15)
	v_lshrrev_b32_e32 v2, 16, v29
	v_mul_f16_sdwa v3, v16, v29 dst_sel:DWORD dst_unused:UNUSED_PAD src0_sel:WORD_1 src1_sel:DWORD
	v_fma_f16 v3, v16, v2, -v3
	v_mul_f16_sdwa v2, v16, v2 dst_sel:DWORD dst_unused:UNUSED_PAD src0_sel:WORD_1 src1_sel:DWORD
	v_fma_f16 v2, v16, v29, v2
	s_waitcnt vmcnt(13)
	v_lshrrev_b32_e32 v13, 16, v31
	v_mul_f16_sdwa v14, v17, v31 dst_sel:DWORD dst_unused:UNUSED_PAD src0_sel:WORD_1 src1_sel:DWORD
	v_lshrrev_b32_e32 v15, 16, v30
	v_mul_f16_sdwa v16, v18, v30 dst_sel:DWORD dst_unused:UNUSED_PAD src0_sel:WORD_1 src1_sel:DWORD
	v_fma_f16 v14, v17, v13, -v14
	v_mul_f16_sdwa v13, v17, v13 dst_sel:DWORD dst_unused:UNUSED_PAD src0_sel:WORD_1 src1_sel:DWORD
	v_fma_f16 v16, v18, v15, -v16
	v_mul_f16_sdwa v15, v18, v15 dst_sel:DWORD dst_unused:UNUSED_PAD src0_sel:WORD_1 src1_sel:DWORD
	v_fma_f16 v13, v17, v31, v13
	v_fma_f16 v15, v18, v30, v15
	v_pack_b32_f16 v2, v2, v3
	v_add_u32_e32 v3, v27, v24
	ds_write2_b32 v3, v11, v2 offset0:3 offset1:6
	v_pack_b32_f16 v2, v13, v14
	v_pack_b32_f16 v11, v15, v16
	ds_write2_b32 v3, v2, v11 offset0:9 offset1:12
	s_waitcnt vmcnt(12)
	v_lshrrev_b32_e32 v2, 16, v8
	v_mul_f16_sdwa v11, v19, v2 dst_sel:DWORD dst_unused:UNUSED_PAD src0_sel:WORD_1 src1_sel:DWORD
	v_fma_f16 v11, v19, v8, v11
	v_mul_f16_sdwa v8, v19, v8 dst_sel:DWORD dst_unused:UNUSED_PAD src0_sel:WORD_1 src1_sel:DWORD
	v_fma_f16 v2, v19, v2, -v8
	s_waitcnt vmcnt(11)
	v_lshrrev_b32_e32 v8, 16, v10
	v_pack_b32_f16 v2, v11, v2
	v_mul_f16_sdwa v11, v20, v8 dst_sel:DWORD dst_unused:UNUSED_PAD src0_sel:WORD_1 src1_sel:DWORD
	v_fma_f16 v11, v20, v10, v11
	v_mul_f16_sdwa v10, v20, v10 dst_sel:DWORD dst_unused:UNUSED_PAD src0_sel:WORD_1 src1_sel:DWORD
	v_fma_f16 v8, v20, v8, -v10
	v_pack_b32_f16 v8, v11, v8
	ds_write2_b32 v3, v2, v8 offset0:15 offset1:18
	s_waitcnt vmcnt(10)
	v_lshrrev_b32_e32 v2, 16, v32
	v_mul_f16_sdwa v10, v21, v32 dst_sel:DWORD dst_unused:UNUSED_PAD src0_sel:WORD_1 src1_sel:DWORD
	v_mul_f16_sdwa v8, v21, v2 dst_sel:DWORD dst_unused:UNUSED_PAD src0_sel:WORD_1 src1_sel:DWORD
	v_fma_f16 v2, v21, v2, -v10
	s_waitcnt vmcnt(9)
	v_lshrrev_b32_e32 v10, 16, v33
	s_waitcnt vmcnt(8)
	v_mul_f16_sdwa v11, v36, v10 dst_sel:DWORD dst_unused:UNUSED_PAD src0_sel:WORD_1 src1_sel:DWORD
	v_mul_f16_sdwa v12, v36, v33 dst_sel:DWORD dst_unused:UNUSED_PAD src0_sel:WORD_1 src1_sel:DWORD
	v_fma_f16 v8, v21, v32, v8
	v_fma_f16 v11, v36, v33, v11
	v_fma_f16 v10, v36, v10, -v12
	v_pack_b32_f16 v2, v8, v2
	v_pack_b32_f16 v8, v11, v10
	ds_write2_b32 v3, v2, v8 offset0:21 offset1:24
	s_waitcnt vmcnt(6)
	v_lshrrev_b32_e32 v2, 16, v7
	v_mul_f16_sdwa v8, v6, v2 dst_sel:DWORD dst_unused:UNUSED_PAD src0_sel:WORD_1 src1_sel:DWORD
	v_fma_f16 v8, v6, v7, v8
	v_mul_f16_sdwa v7, v6, v7 dst_sel:DWORD dst_unused:UNUSED_PAD src0_sel:WORD_1 src1_sel:DWORD
	v_fma_f16 v2, v6, v2, -v7
	s_waitcnt vmcnt(5)
	v_lshrrev_b32_e32 v6, 16, v9
	v_pack_b32_f16 v2, v8, v2
	s_waitcnt vmcnt(4)
	v_mul_f16_sdwa v7, v37, v6 dst_sel:DWORD dst_unused:UNUSED_PAD src0_sel:WORD_1 src1_sel:DWORD
	v_mul_f16_sdwa v8, v37, v9 dst_sel:DWORD dst_unused:UNUSED_PAD src0_sel:WORD_1 src1_sel:DWORD
	v_fma_f16 v7, v37, v9, v7
	v_fma_f16 v6, v37, v6, -v8
	v_pack_b32_f16 v6, v7, v6
	ds_write2_b32 v3, v2, v6 offset0:27 offset1:30
	s_waitcnt vmcnt(3)
	v_lshrrev_b32_e32 v2, 16, v38
	s_waitcnt vmcnt(2)
	v_mul_f16_sdwa v6, v39, v2 dst_sel:DWORD dst_unused:UNUSED_PAD src0_sel:WORD_1 src1_sel:DWORD
	v_mul_f16_sdwa v7, v39, v38 dst_sel:DWORD dst_unused:UNUSED_PAD src0_sel:WORD_1 src1_sel:DWORD
	v_fma_f16 v6, v39, v38, v6
	v_fma_f16 v2, v39, v2, -v7
	v_pack_b32_f16 v2, v6, v2
	s_waitcnt vmcnt(1)
	v_lshrrev_b32_e32 v6, 16, v4
	s_waitcnt vmcnt(0)
	v_mul_f16_sdwa v7, v5, v6 dst_sel:DWORD dst_unused:UNUSED_PAD src0_sel:WORD_1 src1_sel:DWORD
	v_fma_f16 v7, v5, v4, v7
	v_mul_f16_sdwa v4, v5, v4 dst_sel:DWORD dst_unused:UNUSED_PAD src0_sel:WORD_1 src1_sel:DWORD
	v_fma_f16 v4, v5, v6, -v4
	v_pack_b32_f16 v4, v7, v4
	ds_write2_b32 v3, v2, v4 offset0:33 offset1:36
.LBB0_3:
	s_or_b64 exec, exec, s[14:15]
	s_load_dwordx2 s[2:3], s[4:5], 0x20
	s_load_dwordx2 s[0:1], s[4:5], 0x8
	v_mov_b32_e32 v8, 0
	s_waitcnt lgkmcnt(0)
	s_barrier
	s_waitcnt lgkmcnt(0)
                                        ; implicit-def: $vgpr10
                                        ; implicit-def: $vgpr15
                                        ; implicit-def: $vgpr16
                                        ; implicit-def: $vgpr20
                                        ; implicit-def: $vgpr19
                                        ; implicit-def: $vgpr12
	s_and_saveexec_b64 s[4:5], vcc
	s_cbranch_execz .LBB0_5
; %bb.4:
	v_lshl_add_u32 v2, v26, 2, v24
	ds_read2_b32 v[8:9], v2 offset1:3
	ds_read2_b32 v[18:19], v2 offset0:6 offset1:9
	ds_read2_b32 v[14:15], v2 offset0:12 offset1:15
	ds_read2_b32 v[10:11], v2 offset0:18 offset1:21
	ds_read2_b32 v[16:17], v2 offset0:24 offset1:27
	ds_read2_b32 v[20:21], v2 offset0:30 offset1:33
	ds_read_b32 v12, v2 offset:144
.LBB0_5:
	s_or_b64 exec, exec, s[4:5]
	s_waitcnt lgkmcnt(0)
	v_pk_add_f16 v13, v9, v12 neg_lo:[0,1] neg_hi:[0,1]
	s_mov_b32 s15, 0xba95
	v_pk_add_f16 v41, v12, v9
	s_movk_i32 s5, 0x388b
	v_mul_f16_sdwa v40, v13, s15 dst_sel:DWORD dst_unused:UNUSED_PAD src0_sel:WORD_1 src1_sel:DWORD
	s_mov_b32 s14, 0xbbf1
	s_mov_b32 s11, 0xbb7b
	v_pk_add_f16 v29, v18, v21 neg_lo:[0,1] neg_hi:[0,1]
	v_fma_f16 v2, v41, s5, v40
	v_mul_f16_sdwa v28, v13, s14 dst_sel:DWORD dst_unused:UNUSED_PAD src0_sel:WORD_1 src1_sel:DWORD
	s_movk_i32 s4, 0x2fb7
	s_mov_b32 s8, 0xb5ac
	s_mov_b32 s10, 0xb3a8
	v_pk_add_f16 v43, v21, v18
	v_mul_f16_sdwa v42, v29, s11 dst_sel:DWORD dst_unused:UNUSED_PAD src0_sel:WORD_1 src1_sel:DWORD
	v_fma_f16 v3, v41, s4, v28
	s_mov_b32 s9, 0xbbc4
	v_fma_f16 v4, v43, s8, v42
	v_add_f16_e32 v2, v2, v8
	v_mul_f16_sdwa v30, v29, s10 dst_sel:DWORD dst_unused:UNUSED_PAD src0_sel:WORD_1 src1_sel:DWORD
	v_pk_add_f16 v31, v19, v20 neg_lo:[0,1] neg_hi:[0,1]
	v_add_f16_e32 v2, v4, v2
	v_add_f16_e32 v3, v3, v8
	v_fma_f16 v4, v43, s9, v30
	v_pk_add_f16 v46, v20, v19
	v_mul_f16_sdwa v44, v31, s10 dst_sel:DWORD dst_unused:UNUSED_PAD src0_sel:WORD_1 src1_sel:DWORD
	s_movk_i32 s20, 0x3b7b
	v_add_f16_e32 v3, v4, v3
	v_fma_f16 v4, v46, s9, v44
	v_mul_f16_sdwa v32, v31, s20 dst_sel:DWORD dst_unused:UNUSED_PAD src0_sel:WORD_1 src1_sel:DWORD
	v_pk_add_f16 v38, v14, v17
	v_pk_add_f16 v33, v14, v17 neg_lo:[0,1] neg_hi:[0,1]
	v_add_f16_e32 v2, v4, v2
	v_fma_f16 v4, v46, s8, v32
	s_movk_i32 s16, 0x394e
	v_lshrrev_b32_e32 v48, 16, v33
	v_mul_f16_e32 v45, 0xb9fd, v38
	v_add_f16_e32 v3, v4, v3
	v_fma_f16 v4, v48, s16, v45
	s_movk_i32 s21, 0x3770
	v_mul_f16_e32 v34, 0x3b15, v38
	v_pk_add_f16 v39, v15, v16
	v_pk_add_f16 v35, v15, v16 neg_lo:[0,1] neg_hi:[0,1]
	v_add_f16_e32 v2, v4, v2
	v_fma_f16 v4, v48, s21, v34
	s_movk_i32 s22, 0x3bf1
	v_lshrrev_b32_e32 v50, 16, v35
	v_mul_f16_e32 v47, 0x2fb7, v39
	v_add_f16_e32 v3, v4, v3
	v_fma_f16 v4, v50, s22, v47
	v_mul_f16_e32 v36, 0x388b, v39
	v_pk_add_f16 v74, v10, v11
	v_pk_add_f16 v81, v10, v11 neg_lo:[0,1] neg_hi:[0,1]
	v_add_f16_e32 v2, v4, v2
	v_fma_f16 v4, v50, s15, v36
	v_lshrrev_b32_e32 v51, 16, v81
	v_mul_f16_e32 v49, 0x3b15, v74
	v_add_f16_e32 v4, v4, v3
	s_mov_b32 s18, 0xb94e
	v_fma_f16 v3, v51, s21, v49
	v_mul_f16_e32 v82, 0xb9fd, v74
	v_add_f16_e32 v3, v3, v2
	v_fma_f16 v2, v51, s18, v82
	v_mul_f16_sdwa v6, v13, s11 dst_sel:DWORD dst_unused:UNUSED_PAD src0_sel:WORD_1 src1_sel:DWORD
	v_add_f16_e32 v2, v2, v4
	s_mov_b32 s17, 0xb9fd
	v_fma_f16 v4, v41, s8, -v6
	v_mul_f16_sdwa v7, v29, s16 dst_sel:DWORD dst_unused:UNUSED_PAD src0_sel:WORD_1 src1_sel:DWORD
	v_add_f16_e32 v4, v4, v8
	v_fma_f16 v5, v43, s17, -v7
	v_mul_f16_sdwa v37, v13, s18 dst_sel:DWORD dst_unused:UNUSED_PAD src0_sel:WORD_1 src1_sel:DWORD
	v_add_f16_e32 v4, v5, v4
	v_fma_f16 v5, v41, s17, -v37
	v_mul_f16_sdwa v52, v29, s22 dst_sel:DWORD dst_unused:UNUSED_PAD src0_sel:WORD_1 src1_sel:DWORD
	v_add_f16_e32 v5, v5, v8
	v_fma_f16 v53, v43, s4, -v52
	v_add_f16_e32 v5, v53, v5
	s_movk_i32 s19, 0x3b15
	v_mul_f16_sdwa v53, v31, s21 dst_sel:DWORD dst_unused:UNUSED_PAD src0_sel:WORD_1 src1_sel:DWORD
	v_fma_f16 v54, v46, s19, -v53
	v_add_f16_e32 v4, v54, v4
	v_mul_f16_sdwa v54, v31, s15 dst_sel:DWORD dst_unused:UNUSED_PAD src0_sel:WORD_1 src1_sel:DWORD
	v_fma_f16 v55, v46, s5, -v54
	v_add_f16_e32 v5, v55, v5
	v_mul_f16_e32 v55, 0x2fb7, v38
	v_fma_f16 v56, v48, s22, v55
	v_add_f16_e32 v4, v56, v4
	v_mul_f16_e32 v56, 0xbbc4, v38
	v_fma_f16 v57, v48, s10, v56
	v_add_f16_e32 v5, v57, v5
	v_mul_f16_e32 v57, 0xbbc4, v39
	v_fma_f16 v58, v50, s10, v57
	v_fma_f16 v6, v41, s8, v6
	v_add_f16_e32 v4, v58, v4
	s_mov_b32 s22, 0xb770
	v_mul_f16_e32 v58, 0x3b15, v39
	v_fma_f16 v7, v43, s17, v7
	v_add_f16_e32 v6, v6, v8
	v_fma_f16 v59, v50, s22, v58
	v_add_f16_e32 v6, v7, v6
	;; [unrolled: 2-line block ×3, first 2 shown]
	v_mul_f16_e32 v59, 0x388b, v74
	v_fma_f16 v37, v43, s4, v52
	v_add_f16_e32 v7, v7, v8
	v_fma_f16 v60, v51, s15, v59
	v_add_f16_e32 v7, v37, v7
	;; [unrolled: 2-line block ×3, first 2 shown]
	v_mul_f16_e32 v60, 0xb5ac, v74
	v_add_f16_e32 v6, v37, v6
	v_fma_f16 v37, v46, s5, v54
	v_fma_f16 v61, v51, s20, v60
	v_add_f16_e32 v7, v37, v7
	v_fma_f16 v37, v48, s14, v55
	s_movk_i32 s20, 0x33a8
	v_add_f16_e32 v6, v37, v6
	v_fma_f16 v37, v48, s20, v56
	v_add_f16_e32 v7, v37, v7
	v_fma_f16 v37, v50, s20, v57
	;; [unrolled: 2-line block ×3, first 2 shown]
	s_movk_i32 s20, 0x3a95
	v_add_f16_e32 v37, v37, v7
	v_fma_f16 v7, v51, s20, v59
	v_fma_f16 v52, v51, s11, v60
	v_mul_f16_sdwa v53, v13, s22 dst_sel:DWORD dst_unused:UNUSED_PAD src0_sel:WORD_1 src1_sel:DWORD
	v_add_f16_e32 v7, v7, v6
	v_add_f16_e32 v6, v52, v37
	v_fma_f16 v37, v41, s19, v53
	v_mul_f16_sdwa v52, v29, s15 dst_sel:DWORD dst_unused:UNUSED_PAD src0_sel:WORD_1 src1_sel:DWORD
	v_add_f16_e32 v37, v37, v8
	v_fma_f16 v54, v43, s5, v52
	v_add_f16_e32 v37, v54, v37
	v_lshrrev_b32_e32 v56, 16, v41
	v_mul_f16_e32 v54, 0xba95, v13
	v_fma_f16 v55, v56, s5, -v54
	v_fma_f16 v28, v41, s4, -v28
	v_add_f16_sdwa v58, v55, v8 dst_sel:DWORD dst_unused:UNUSED_PAD src0_sel:DWORD src1_sel:WORD_1
	v_lshrrev_b32_e32 v57, 16, v43
	v_mul_f16_e32 v55, 0xbb7b, v29
	v_fma_f16 v30, v43, s9, -v30
	v_add_f16_e32 v28, v28, v8
	v_fma_f16 v59, v57, s8, -v55
	v_add_f16_e32 v28, v30, v28
	v_mul_f16_e32 v30, 0xbbf1, v13
	v_add_f16_e32 v60, v59, v58
	v_fma_f16 v58, v56, s4, v30
	v_mul_f16_e32 v59, 0xb3a8, v29
	v_add_f16_e32 v5, v61, v5
	v_add_f16_sdwa v58, v58, v8 dst_sel:DWORD dst_unused:UNUSED_PAD src0_sel:DWORD src1_sel:WORD_1
	v_fma_f16 v61, v57, s9, v59
	v_fma_f16 v30, v56, s4, -v30
	v_add_f16_e32 v64, v61, v58
	v_fma_f16 v58, v57, s9, -v59
	v_add_f16_sdwa v30, v30, v8 dst_sel:DWORD dst_unused:UNUSED_PAD src0_sel:DWORD src1_sel:WORD_1
	v_add_f16_e32 v30, v58, v30
	v_mul_f16_e32 v58, 0xbb7b, v13
	v_fma_f16 v59, v56, s8, v58
	v_mul_f16_e32 v61, 0x394e, v29
	v_add_f16_sdwa v59, v59, v8 dst_sel:DWORD dst_unused:UNUSED_PAD src0_sel:DWORD src1_sel:WORD_1
	v_fma_f16 v62, v57, s17, v61
	v_fma_f16 v58, v56, s8, -v58
	v_add_f16_e32 v65, v62, v59
	v_fma_f16 v59, v57, s17, -v61
	v_add_f16_sdwa v58, v58, v8 dst_sel:DWORD dst_unused:UNUSED_PAD src0_sel:DWORD src1_sel:WORD_1
	v_add_f16_e32 v66, v59, v58
	v_mul_f16_e32 v58, 0xb94e, v13
	v_fma_f16 v59, v56, s17, v58
	v_mul_f16_e32 v61, 0x3bf1, v29
	v_add_f16_sdwa v59, v59, v8 dst_sel:DWORD dst_unused:UNUSED_PAD src0_sel:DWORD src1_sel:WORD_1
	v_fma_f16 v62, v57, s4, v61
	v_fma_f16 v58, v56, s17, -v58
	v_add_f16_e32 v67, v62, v59
	v_fma_f16 v59, v57, s4, -v61
	v_add_f16_sdwa v58, v58, v8 dst_sel:DWORD dst_unused:UNUSED_PAD src0_sel:DWORD src1_sel:WORD_1
	s_mov_b32 s21, 0xb3a8b770
	v_add_f16_e32 v68, v59, v58
	s_mov_b32 s15, 0x3b15bbc4
	v_pk_mul_f16 v59, v13, s21
	s_mov_b32 s23, 0x3770ba95
	v_pk_fma_f16 v58, v41, s15, v59 op_sel:[0,0,1] op_sel_hi:[1,1,0] neg_lo:[0,0,1] neg_hi:[0,0,1]
	s_mov_b32 s21, 0x388b3b15
	v_pk_mul_f16 v61, v29, s23
	v_mul_f16_e32 v13, 0xb3a8, v13
	v_pk_add_f16 v58, v58, v8
	v_pk_fma_f16 v62, v43, s21, v61 op_sel:[0,0,1] op_sel_hi:[1,1,0] neg_lo:[0,0,1] neg_hi:[0,0,1]
	v_mul_f16_e32 v75, 0x3770, v29
	v_fma_f16 v29, v56, s9, -v13
	v_pk_add_f16 v69, v62, v58
	v_add_f16_sdwa v29, v29, v8 dst_sel:DWORD dst_unused:UNUSED_PAD src0_sel:DWORD src1_sel:WORD_1
	v_fma_f16 v58, v57, s19, -v75
	v_add_f16_e32 v29, v58, v29
	v_mul_f16_sdwa v58, v31, s14 dst_sel:DWORD dst_unused:UNUSED_PAD src0_sel:WORD_1 src1_sel:DWORD
	v_fma_f16 v62, v46, s4, v58
	v_add_f16_e32 v37, v62, v37
	v_lshrrev_b32_e32 v63, 16, v46
	v_mul_f16_e32 v62, 0xb3a8, v31
	v_fma_f16 v32, v46, s8, -v32
	v_fma_f16 v70, v63, s9, -v62
	v_add_f16_e32 v28, v32, v28
	v_mul_f16_e32 v32, 0x3b7b, v31
	v_add_f16_e32 v70, v70, v60
	v_fma_f16 v60, v63, s8, v32
	v_fma_f16 v32, v63, s8, -v32
	v_add_f16_e32 v30, v32, v30
	v_mul_f16_e32 v32, 0x3770, v31
	v_add_f16_e32 v64, v60, v64
	v_fma_f16 v60, v63, s19, v32
	v_add_f16_e32 v71, v60, v65
	v_fma_f16 v32, v63, s19, -v32
	v_mul_f16_e32 v60, 0xba95, v31
	s_mov_b32 s23, 0xb94ebbf1
	v_add_f16_e32 v32, v32, v66
	v_fma_f16 v65, v63, s5, v60
	v_fma_f16 v60, v63, s5, -v60
	s_mov_b32 s14, 0x2fb7b9fd
	v_pk_mul_f16 v66, v31, s23
	v_add_f16_e32 v72, v60, v68
	v_pk_fma_f16 v60, v46, s14, v66 op_sel:[0,0,1] op_sel_hi:[1,1,0] neg_lo:[0,0,1] neg_hi:[0,0,1]
	v_mul_f16_e32 v77, 0xb94e, v31
	v_pk_add_f16 v69, v60, v69
	v_fma_f16 v31, v63, s17, -v77
	v_mul_f16_e32 v60, 0xb5ac, v38
	v_add_f16_e32 v67, v65, v67
	v_add_f16_e32 v29, v31, v29
	v_fma_f16 v31, v48, s11, v60
	v_lshrrev_b32_e32 v68, 16, v38
	v_mul_f16_e32 v65, 0x394e, v33
	v_fma_f16 v34, v48, s22, v34
	v_add_f16_e32 v31, v31, v37
	v_fma_f16 v37, v68, s17, -v65
	v_add_f16_e32 v28, v34, v28
	v_mul_f16_e32 v34, 0x3770, v33
	v_add_f16_e32 v37, v37, v70
	v_fma_f16 v70, v68, s19, v34
	v_fma_f16 v34, v68, s19, -v34
	v_add_f16_e32 v30, v34, v30
	v_mul_f16_e32 v34, 0xbbf1, v33
	v_add_f16_e32 v73, v70, v64
	v_fma_f16 v64, v68, s4, v34
	v_fma_f16 v34, v68, s4, -v34
	v_add_f16_e32 v32, v34, v32
	v_mul_f16_e32 v34, 0x33a8, v33
	s_mov_b32 s22, 0x3a95bb7b
	v_add_f16_e32 v76, v64, v71
	v_fma_f16 v64, v68, s9, v34
	s_mov_b32 s11, 0xb5ac388b
	v_pk_mul_f16 v70, v33, s22
	v_add_f16_e32 v67, v64, v67
	v_fma_f16 v34, v68, s9, -v34
	v_pk_fma_f16 v64, v38, s11, v70 op_sel:[0,0,1] op_sel_hi:[1,1,0] neg_lo:[0,0,1] neg_hi:[0,0,1]
	v_mul_f16_e32 v79, 0x3a95, v33
	v_add_f16_e32 v34, v34, v72
	v_pk_add_f16 v72, v64, v69
	v_fma_f16 v33, v68, s5, -v79
	v_mul_f16_e32 v64, 0xb9fd, v39
	v_add_f16_e32 v29, v33, v29
	v_fma_f16 v33, v50, s18, v64
	v_lshrrev_b32_e32 v71, 16, v39
	v_mul_f16_e32 v69, 0x3bf1, v35
	v_add_f16_e32 v31, v33, v31
	v_fma_f16 v33, v71, s4, -v69
	v_add_f16_e32 v37, v33, v37
	v_fma_f16 v33, v50, s20, v36
	v_add_f16_e32 v28, v33, v28
	v_mul_f16_e32 v33, 0xba95, v35
	v_fma_f16 v36, v71, s5, v33
	v_fma_f16 v33, v71, s5, -v33
	v_add_f16_e32 v30, v33, v30
	v_mul_f16_e32 v33, 0x33a8, v35
	v_add_f16_e32 v36, v36, v73
	v_fma_f16 v73, v71, s9, v33
	v_fma_f16 v33, v71, s9, -v33
	v_add_f16_e32 v80, v33, v32
	v_mul_f16_e32 v32, 0x3770, v35
	s_mov_b32 s20, 0xbb7bb94e
	v_add_f16_e32 v76, v73, v76
	v_fma_f16 v33, v71, s19, v32
	v_fma_f16 v32, v71, s19, -v32
	s_mov_b32 s18, 0xb9fdb5ac
	v_pk_mul_f16 v73, v35, s20
	v_add_f16_e32 v84, v32, v34
	v_pk_fma_f16 v32, v39, s18, v73 op_sel:[0,0,1] op_sel_hi:[1,1,0] neg_lo:[0,0,1] neg_hi:[0,0,1]
	v_mul_f16_e32 v86, 0xbb7b, v35
	v_add_f16_e32 v83, v33, v67
	v_pk_add_f16 v85, v32, v72
	v_fma_f16 v32, v71, s8, -v86
	v_mul_f16_e32 v67, 0xbbc4, v74
	v_add_f16_e32 v87, v32, v29
	v_fma_f16 v29, v51, s10, v67
	v_lshrrev_b32_e32 v78, 16, v74
	v_mul_f16_e32 v72, 0x3770, v81
	v_add_f16_e32 v33, v29, v31
	v_fma_f16 v29, v78, s19, -v72
	v_mul_f16_e32 v31, 0xb94e, v81
	v_add_f16_e32 v32, v29, v37
	v_fma_f16 v29, v78, s17, v31
	v_fma_f16 v31, v78, s17, -v31
	v_add_f16_e32 v34, v31, v30
	v_mul_f16_e32 v31, 0x3a95, v81
	v_fma_f16 v30, v78, s5, v31
	v_fma_f16 v31, v78, s5, -v31
	v_mul_f16_e32 v35, 0xbb7b, v81
	v_add_f16_e32 v29, v29, v36
	v_add_f16_e32 v30, v30, v76
	;; [unrolled: 1-line block ×3, first 2 shown]
	v_fma_f16 v31, v78, s8, v35
	v_fma_f16 v35, v78, s8, -v35
	s_mov_b32 s8, 0x3bf1b3a8
	v_pk_fma_f16 v76, v41, s15, v59 op_sel:[0,0,1] op_sel_hi:[1,1,0]
	v_pk_mul_f16 v80, v81, s8
	v_pack_b32_f16 v75, v75, v76
	s_mov_b32 s8, 0x5040100
	v_mul_f16_e32 v76, 0x3b15, v57
	v_perm_b32 v76, v8, v76, s8
	v_pk_add_f16 v76, v75, v76
	v_fma_f16 v13, v56, s9, v13
	v_pk_mul_f16 v75, v43, s21
	s_mov_b32 s9, 0x7060302
	v_add_f16_e32 v31, v31, v83
	v_pack_b32_f16 v13, v13, v75
	v_perm_b32 v83, v61, v8, s9
	v_pk_add_f16 v13, v13, v83
	v_pk_add_f16 v13, v13, v76
	v_pk_mul_f16 v76, v46, s14
	s_mov_b32 s9, 0xffff
	v_mul_f16_e32 v83, 0xb9fd, v63
	v_pack_b32_f16 v77, v77, v76
	v_bfi_b32 v83, s9, v83, v66
	v_pk_add_f16 v77, v77, v83
	v_pk_add_f16 v13, v77, v13
	v_pk_mul_f16 v77, v38, s11
	v_mul_f16_e32 v38, 0x388b, v68
	v_bfi_b32 v38, s9, v38, v70
	v_pack_b32_f16 v79, v79, v77
	v_pk_add_f16 v38, v38, v79
	v_pk_add_f16 v13, v38, v13
	v_pk_mul_f16 v79, v39, s18
	v_mul_f16_e32 v38, 0xb5ac, v71
	v_bfi_b32 v38, s9, v38, v73
	v_pack_b32_f16 v39, v86, v79
	s_mov_b32 s5, 0xbbc42fb7
	v_pk_add_f16 v38, v38, v39
	v_pk_fma_f16 v37, v74, s5, v80 op_sel:[0,0,1] op_sel_hi:[1,1,0] neg_lo:[0,0,1] neg_hi:[0,0,1]
	v_pk_add_f16 v13, v38, v13
	v_pk_mul_f16 v74, v74, s5
	v_mul_f16_e32 v39, 0x3bf1, v81
	v_mul_f16_e32 v38, 0x2fb7, v78
	v_bfi_b32 v38, s9, v38, v80
	v_pack_b32_f16 v81, v39, v74
	v_pk_add_f16 v38, v38, v81
	v_pk_add_f16 v38, v38, v13
	v_fma_f16 v13, v78, s4, -v39
	v_add_f16_e32 v39, v13, v87
	v_fma_f16 v13, v51, s16, v82
	v_add_f16_e32 v35, v35, v84
	v_pk_add_f16 v37, v37, v85
	v_add_f16_e32 v13, v13, v28
	v_mul_lo_u16_e32 v28, 13, v25
	s_barrier
	s_and_saveexec_b64 s[4:5], vcc
	s_cbranch_execz .LBB0_7
; %bb.6:
	v_mul_f16_e32 v82, 0x388b, v41
	v_mul_f16_e32 v83, 0x388b, v43
	;; [unrolled: 1-line block ×3, first 2 shown]
	v_sub_f16_e32 v40, v82, v40
	v_mul_f16_e32 v84, 0x2fb7, v46
	v_mul_f16_e32 v46, 0xbbc4, v46
	v_add_f16_e32 v40, v40, v8
	v_sub_f16_e32 v42, v43, v42
	v_mul_f16_e32 v85, 0xbb7b, v48
	v_mul_f16_e32 v48, 0x394e, v48
	v_add_f16_e32 v40, v42, v40
	;; [unrolled: 4-line block ×4, first 2 shown]
	v_sub_f16_e32 v42, v47, v50
	v_mul_f16_e32 v81, 0x3b15, v41
	v_pk_mul_f16 v41, v41, s15
	v_add_f16_e32 v40, v42, v40
	v_sub_f16_e32 v42, v49, v51
	v_alignbit_b32 v59, v59, v59, 16
	v_add_f16_e32 v40, v42, v40
	v_bfi_b32 v42, s9, v53, v41
	v_pk_add_f16 v42, v81, v42 neg_lo:[0,1] neg_hi:[0,1]
	v_pk_add_f16 v41, v59, v41
	v_pk_add_f16 v9, v9, v8
	v_alignbit_b32 v61, v61, v61, 16
	v_bfi_b32 v41, s9, v42, v41
	v_bfi_b32 v42, s9, v52, v75
	v_pk_add_f16 v9, v18, v9
	v_pk_add_f16 v42, v83, v42 neg_lo:[0,1] neg_hi:[0,1]
	v_pk_add_f16 v43, v61, v75
	v_pk_add_f16 v9, v19, v9
	v_alignbit_b32 v66, v66, v66, 16
	v_bfi_b32 v42, s9, v42, v43
	v_bfi_b32 v43, s9, v58, v76
	v_pk_add_f16 v9, v14, v9
	v_mul_f16_e32 v56, 0x388b, v56
	v_alignbit_b32 v70, v70, v70, 16
	v_pk_add_f16 v43, v84, v43 neg_lo:[0,1] neg_hi:[0,1]
	v_pk_add_f16 v44, v66, v76
	v_pk_add_f16 v9, v15, v9
	v_mul_f16_e32 v57, 0xb5ac, v57
	v_add_f16_e32 v54, v54, v56
	v_bfi_b32 v43, s9, v43, v44
	v_bfi_b32 v44, s9, v85, v70
	v_pk_add_f16 v9, v10, v9
	v_mul_f16_e32 v63, 0xbbc4, v63
	v_alignbit_b32 v73, v73, v73, 16
	v_add_f16_sdwa v54, v54, v8 dst_sel:DWORD dst_unused:UNUSED_PAD src0_sel:DWORD src1_sel:WORD_1
	v_add_f16_e32 v55, v55, v57
	v_pk_add_f16 v44, v60, v44 neg_lo:[0,1] neg_hi:[0,1]
	v_pk_add_f16 v45, v77, v70
	v_pk_add_f16 v9, v11, v9
	;; [unrolled: 1-line block ×3, first 2 shown]
	v_mul_f16_e32 v68, 0xb9fd, v68
	v_alignbit_b32 v80, v80, v80, 16
	v_add_f16_e32 v54, v55, v54
	v_add_f16_e32 v55, v62, v63
	v_bfi_b32 v44, s9, v44, v45
	v_bfi_b32 v45, s9, v86, v73
	v_pk_add_f16 v9, v16, v9
	v_pk_add_f16 v8, v42, v8
	v_mul_f16_e32 v71, 0x2fb7, v71
	v_add_f16_e32 v54, v55, v54
	v_add_f16_e32 v55, v68, v65
	v_pk_add_f16 v45, v64, v45 neg_lo:[0,1] neg_hi:[0,1]
	v_pk_add_f16 v46, v79, v73
	v_pk_add_f16 v9, v17, v9
	;; [unrolled: 1-line block ×3, first 2 shown]
	v_bfi_b32 v10, s9, v87, v80
	v_mul_f16_e32 v78, 0x3b15, v78
	v_add_f16_e32 v54, v55, v54
	v_add_f16_e32 v55, v71, v69
	v_bfi_b32 v45, s9, v45, v46
	v_pk_add_f16 v9, v20, v9
	v_pk_add_f16 v8, v44, v8
	v_pk_add_f16 v10, v67, v10 neg_lo:[0,1] neg_hi:[0,1]
	v_pk_add_f16 v11, v74, v80
	v_add_f16_e32 v54, v55, v54
	v_add_f16_e32 v55, v78, v72
	v_pk_add_f16 v9, v21, v9
	v_pk_add_f16 v8, v45, v8
	v_bfi_b32 v10, s9, v10, v11
	v_add_f16_e32 v54, v55, v54
	v_add_lshl_u32 v46, v26, v28, 2
	v_pk_add_f16 v9, v12, v9
	v_pk_add_f16 v8, v10, v8
	ds_write2_b32 v46, v9, v8 offset1:1
	v_pack_b32_f16 v8, v40, v54
	v_perm_b32 v9, v29, v13, s8
	ds_write2_b32 v46, v8, v9 offset0:2 offset1:3
	v_perm_b32 v8, v31, v5, s8
	v_perm_b32 v9, v30, v4, s8
	ds_write2_b32 v46, v9, v8 offset0:4 offset1:5
	v_perm_b32 v8, v38, v37, s8
	v_alignbit_b32 v9, v39, v38, 16
	ds_write2_b32 v46, v8, v9 offset0:6 offset1:7
	v_perm_b32 v8, v36, v7, s8
	v_perm_b32 v9, v35, v6, s8
	ds_write2_b32 v46, v9, v8 offset0:8 offset1:9
	v_perm_b32 v8, v32, v3, s8
	v_perm_b32 v9, v34, v2, s8
	ds_write2_b32 v46, v9, v8 offset0:10 offset1:11
	v_bfi_b32 v8, s9, v33, v37
	ds_write_b32 v46, v8 offset:48
.LBB0_7:
	s_or_b64 exec, exec, s[4:5]
	v_lshlrev_b32_e32 v8, 3, v25
	s_load_dwordx4 s[8:11], s[2:3], 0x0
	s_waitcnt lgkmcnt(0)
	s_barrier
	global_load_dwordx2 v[8:9], v8, s[0:1]
	v_add_lshl_u32 v17, v26, v25, 2
	ds_read2_b32 v[11:12], v17 offset1:13
	ds_read_b32 v10, v17 offset:104
	s_movk_i32 s0, 0x3aee
	s_mov_b32 s1, 0xbaee
	v_lshl_add_u32 v16, v25, 2, v27
	s_waitcnt lgkmcnt(1)
	v_lshrrev_b32_e32 v15, 16, v12
	s_waitcnt lgkmcnt(0)
	v_lshrrev_b32_e32 v18, 16, v10
	v_lshrrev_b32_e32 v14, 16, v11
	s_waitcnt vmcnt(0)
	v_mul_f16_sdwa v19, v15, v8 dst_sel:DWORD dst_unused:UNUSED_PAD src0_sel:DWORD src1_sel:WORD_1
	v_mul_f16_sdwa v20, v12, v8 dst_sel:DWORD dst_unused:UNUSED_PAD src0_sel:DWORD src1_sel:WORD_1
	;; [unrolled: 1-line block ×4, first 2 shown]
	v_fma_f16 v12, v12, v8, -v19
	v_fma_f16 v15, v15, v8, v20
	v_fma_f16 v10, v10, v9, -v21
	v_fma_f16 v18, v18, v9, v40
	v_add_f16_e32 v20, v12, v10
	v_sub_f16_e32 v21, v15, v18
	v_add_f16_e32 v40, v14, v15
	v_add_f16_e32 v15, v15, v18
	;; [unrolled: 1-line block ×3, first 2 shown]
	v_sub_f16_e32 v41, v12, v10
	v_fma_f16 v12, v20, -0.5, v11
	v_fma_f16 v14, v15, -0.5, v14
	v_add_f16_e32 v10, v19, v10
	v_add_f16_e32 v18, v40, v18
	v_fma_f16 v11, v21, s0, v12
	v_fma_f16 v19, v41, s1, v14
	v_fma_f16 v12, v21, s1, v12
	v_fma_f16 v20, v41, s0, v14
	v_pack_b32_f16 v14, v10, v18
	v_pack_b32_f16 v15, v11, v19
	;; [unrolled: 1-line block ×3, first 2 shown]
	ds_write2_b32 v16, v14, v15 offset1:13
	ds_write_b32 v16, v21 offset:104
	s_waitcnt lgkmcnt(0)
	s_barrier
	s_and_saveexec_b64 s[0:1], vcc
	s_cbranch_execz .LBB0_9
; %bb.8:
	global_load_dword v21, v24, s[6:7] offset:156
	s_add_u32 s2, s6, 0x9c
	s_addc_u32 s3, s7, 0
	global_load_dword v50, v24, s[2:3] offset:12
	global_load_dword v51, v24, s[2:3] offset:24
	;; [unrolled: 1-line block ×11, first 2 shown]
	ds_read2_b32 v[14:15], v16 offset1:3
	ds_read2_b32 v[40:41], v16 offset0:6 offset1:9
	ds_read2_b32 v[42:43], v16 offset0:12 offset1:15
	ds_read2_b32 v[44:45], v16 offset0:18 offset1:21
	ds_read2_b32 v[46:47], v16 offset0:24 offset1:27
	ds_read2_b32 v[48:49], v16 offset0:30 offset1:33
	global_load_dword v61, v24, s[2:3] offset:144
	s_waitcnt lgkmcnt(5)
	v_lshrrev_b32_e32 v62, 16, v14
	v_lshrrev_b32_e32 v63, 16, v15
	s_waitcnt lgkmcnt(4)
	v_lshrrev_b32_e32 v64, 16, v40
	v_lshrrev_b32_e32 v65, 16, v41
	s_waitcnt lgkmcnt(3)
	v_lshrrev_b32_e32 v66, 16, v42
	v_lshrrev_b32_e32 v67, 16, v43
	s_waitcnt lgkmcnt(2)
	v_lshrrev_b32_e32 v68, 16, v44
	v_lshrrev_b32_e32 v69, 16, v45
	s_waitcnt lgkmcnt(1)
	v_lshrrev_b32_e32 v70, 16, v46
	v_lshrrev_b32_e32 v71, 16, v47
	s_waitcnt vmcnt(9)
	v_mul_f16_sdwa v74, v65, v52 dst_sel:DWORD dst_unused:UNUSED_PAD src0_sel:DWORD src1_sel:WORD_1
	v_mul_f16_sdwa v75, v41, v52 dst_sel:DWORD dst_unused:UNUSED_PAD src0_sel:DWORD src1_sel:WORD_1
	s_waitcnt vmcnt(8)
	v_mul_f16_sdwa v76, v66, v53 dst_sel:DWORD dst_unused:UNUSED_PAD src0_sel:DWORD src1_sel:WORD_1
	v_mul_f16_sdwa v77, v42, v53 dst_sel:DWORD dst_unused:UNUSED_PAD src0_sel:DWORD src1_sel:WORD_1
	;; [unrolled: 3-line block ×3, first 2 shown]
	v_mul_f16_sdwa v73, v14, v21 dst_sel:DWORD dst_unused:UNUSED_PAD src0_sel:DWORD src1_sel:WORD_1
	v_fma_f16 v14, v14, v21, -v72
	v_fma_f16 v21, v62, v21, v73
	v_pack_b32_f16 v14, v14, v21
	v_mul_f16_sdwa v21, v63, v50 dst_sel:DWORD dst_unused:UNUSED_PAD src0_sel:DWORD src1_sel:WORD_1
	v_mul_f16_sdwa v62, v15, v50 dst_sel:DWORD dst_unused:UNUSED_PAD src0_sel:DWORD src1_sel:WORD_1
	;; [unrolled: 1-line block ×5, first 2 shown]
	s_waitcnt vmcnt(6)
	v_mul_f16_sdwa v80, v68, v55 dst_sel:DWORD dst_unused:UNUSED_PAD src0_sel:DWORD src1_sel:WORD_1
	v_mul_f16_sdwa v81, v44, v55 dst_sel:DWORD dst_unused:UNUSED_PAD src0_sel:DWORD src1_sel:WORD_1
	s_waitcnt vmcnt(5)
	v_mul_f16_sdwa v82, v69, v56 dst_sel:DWORD dst_unused:UNUSED_PAD src0_sel:DWORD src1_sel:WORD_1
	v_mul_f16_sdwa v83, v45, v56 dst_sel:DWORD dst_unused:UNUSED_PAD src0_sel:DWORD src1_sel:WORD_1
	;; [unrolled: 3-line block ×4, first 2 shown]
	v_fma_f16 v15, v15, v50, -v21
	v_fma_f16 v21, v63, v50, v62
	v_fma_f16 v40, v40, v51, -v72
	v_fma_f16 v50, v64, v51, v73
	v_fma_f16 v41, v41, v52, -v74
	v_fma_f16 v51, v65, v52, v75
	v_fma_f16 v42, v42, v53, -v76
	v_fma_f16 v52, v66, v53, v77
	v_fma_f16 v43, v43, v54, -v78
	v_fma_f16 v53, v67, v54, v79
	v_fma_f16 v44, v44, v55, -v80
	v_fma_f16 v54, v68, v55, v81
	v_fma_f16 v45, v45, v56, -v82
	v_fma_f16 v55, v69, v56, v83
	v_fma_f16 v46, v46, v57, -v84
	v_fma_f16 v56, v70, v57, v85
	v_fma_f16 v47, v47, v58, -v86
	v_fma_f16 v57, v71, v58, v87
	v_pack_b32_f16 v15, v15, v21
	v_pack_b32_f16 v21, v40, v50
	;; [unrolled: 1-line block ×9, first 2 shown]
	ds_write2_b32 v16, v14, v15 offset1:3
	ds_write2_b32 v16, v21, v40 offset0:6 offset1:9
	ds_write2_b32 v16, v41, v42 offset0:12 offset1:15
	;; [unrolled: 1-line block ×4, first 2 shown]
	s_waitcnt lgkmcnt(5)
	v_lshrrev_b32_e32 v14, 16, v48
	s_waitcnt vmcnt(2)
	v_mul_f16_sdwa v15, v14, v59 dst_sel:DWORD dst_unused:UNUSED_PAD src0_sel:DWORD src1_sel:WORD_1
	v_mul_f16_sdwa v21, v48, v59 dst_sel:DWORD dst_unused:UNUSED_PAD src0_sel:DWORD src1_sel:WORD_1
	v_fma_f16 v15, v48, v59, -v15
	v_fma_f16 v14, v14, v59, v21
	ds_read_b32 v40, v16 offset:144
	v_pack_b32_f16 v14, v15, v14
	v_lshrrev_b32_e32 v15, 16, v49
	s_waitcnt vmcnt(1)
	v_mul_f16_sdwa v21, v15, v60 dst_sel:DWORD dst_unused:UNUSED_PAD src0_sel:DWORD src1_sel:WORD_1
	v_mul_f16_sdwa v41, v49, v60 dst_sel:DWORD dst_unused:UNUSED_PAD src0_sel:DWORD src1_sel:WORD_1
	v_fma_f16 v21, v49, v60, -v21
	v_fma_f16 v15, v15, v60, v41
	v_pack_b32_f16 v15, v21, v15
	ds_write2_b32 v16, v14, v15 offset0:30 offset1:33
	s_waitcnt lgkmcnt(1)
	v_lshrrev_b32_e32 v14, 16, v40
	s_waitcnt vmcnt(0)
	v_mul_f16_sdwa v15, v14, v61 dst_sel:DWORD dst_unused:UNUSED_PAD src0_sel:DWORD src1_sel:WORD_1
	v_mul_f16_sdwa v21, v40, v61 dst_sel:DWORD dst_unused:UNUSED_PAD src0_sel:DWORD src1_sel:WORD_1
	v_fma_f16 v15, v40, v61, -v15
	v_fma_f16 v14, v14, v61, v21
	v_pack_b32_f16 v14, v15, v14
	ds_write_b32 v16, v14 offset:144
.LBB0_9:
	s_or_b64 exec, exec, s[0:1]
	v_lshrrev_b32_e32 v15, 16, v38
	s_waitcnt lgkmcnt(0)
	s_barrier
	s_and_saveexec_b64 s[0:1], vcc
	s_cbranch_execz .LBB0_11
; %bb.10:
	ds_read2_b32 v[10:11], v16 offset1:3
	ds_read2_b32 v[12:13], v16 offset0:6 offset1:9
	ds_read2_b32 v[4:5], v16 offset0:12 offset1:15
	;; [unrolled: 1-line block ×5, first 2 shown]
	ds_read_b32 v33, v16 offset:144
	s_mov_b32 s2, 0xffff
	s_waitcnt lgkmcnt(6)
	v_lshrrev_b32_e32 v18, 16, v10
	v_lshrrev_b32_e32 v19, 16, v11
	s_waitcnt lgkmcnt(5)
	v_lshrrev_b32_e32 v20, 16, v12
	v_lshrrev_b32_e32 v29, 16, v13
	;; [unrolled: 3-line block ×6, first 2 shown]
	s_waitcnt lgkmcnt(0)
	v_bfi_b32 v37, s2, v14, v33
.LBB0_11:
	s_or_b64 exec, exec, s[0:1]
	s_barrier
	s_and_saveexec_b64 s[0:1], vcc
	s_cbranch_execz .LBB0_13
; %bb.12:
	v_add_f16_sdwa v14, v37, v19 dst_sel:DWORD dst_unused:UNUSED_PAD src0_sel:WORD_1 src1_sel:DWORD
	v_mul_f16_e32 v21, 0xbbc4, v14
	v_sub_f16_e32 v40, v11, v33
	s_movk_i32 s24, 0x33a8
	v_add_f16_e32 v42, v32, v20
	v_fma_f16 v41, v40, s24, v21
	v_mul_f16_e32 v43, 0x3b15, v42
	v_sub_f16_e32 v44, v12, v3
	s_mov_b32 s5, 0xb770
	v_add_f16_e32 v41, v18, v41
	v_fma_f16 v45, v44, s5, v43
	v_add_f16_e32 v41, v45, v41
	v_add_f16_e32 v45, v34, v29
	v_mul_f16_e32 v46, 0xb9fd, v45
	v_sub_f16_e32 v47, v13, v2
	s_movk_i32 s19, 0x394e
	v_fma_f16 v48, v47, s19, v46
	v_sub_f16_e32 v49, v4, v7
	v_add_f16_e32 v41, v48, v41
	v_add_f16_e32 v48, v30, v36
	v_mul_f16_e32 v50, 0x3a95, v49
	s_movk_i32 s14, 0x388b
	v_fma_f16 v51, v48, s14, -v50
	v_sub_f16_e32 v52, v5, v6
	v_add_f16_e32 v41, v51, v41
	v_add_f16_e32 v51, v31, v35
	v_mul_f16_e32 v53, 0xbb7b, v52
	s_mov_b32 s15, 0xb5ac
	v_fma_f16 v54, v51, s15, -v53
	v_sub_f16_e32 v55, v37, v15
	v_add_f16_e32 v41, v54, v41
	v_add_f16_e32 v54, v38, v39
	v_mul_f16_e32 v56, 0x3bf1, v55
	s_movk_i32 s16, 0x2fb7
	v_fma_f16 v57, v54, s16, -v56
	v_sub_f16_sdwa v58, v19, v37 dst_sel:DWORD dst_unused:UNUSED_PAD src0_sel:DWORD src1_sel:WORD_1
	s_mov_b32 s2, 0xbbc4
	v_add_f16_e32 v41, v57, v41
	v_add_f16_e32 v57, v33, v11
	v_mul_f16_e32 v59, 0xb3a8, v58
	v_sub_f16_e32 v62, v20, v32
	s_movk_i32 s4, 0x3b15
	v_fma_f16 v60, v57, s2, v59
	v_add_f16_e32 v61, v3, v12
	v_mul_f16_e32 v63, 0x3770, v62
	v_add_f16_e32 v60, v10, v60
	v_fma_f16 v64, v61, s4, v63
	v_sub_f16_e32 v65, v29, v34
	s_mov_b32 s3, 0xb9fd
	v_add_f16_e32 v60, v64, v60
	v_add_f16_e32 v64, v2, v13
	v_mul_f16_e32 v66, 0xb94e, v65
	v_fma_f16 v67, v64, s3, v66
	v_sub_f16_e32 v68, v30, v36
	v_add_f16_e32 v60, v67, v60
	v_add_f16_e32 v67, v4, v7
	v_mul_f16_e32 v69, 0x3a95, v68
	v_fma_f16 v70, v67, s14, v69
	v_sub_f16_e32 v71, v31, v35
	;; [unrolled: 5-line block ×3, first 2 shown]
	v_add_f16_e32 v60, v73, v60
	v_add_f16_e32 v73, v37, v15
	v_mul_f16_e32 v75, 0x3bf1, v74
	v_fma_f16 v76, v73, s16, v75
	v_add_f16_e32 v60, v76, v60
	v_mul_f16_e32 v76, 0xb9fd, v14
	v_fma_f16 v77, v40, s19, v76
	v_mul_f16_e32 v78, 0x2fb7, v42
	s_mov_b32 s18, 0xbbf1
	v_add_f16_e32 v77, v18, v77
	v_fma_f16 v79, v44, s18, v78
	s_movk_i32 s23, 0x3a95
	v_add_f16_e32 v77, v79, v77
	v_mul_f16_e32 v79, 0x388b, v45
	v_fma_f16 v80, v47, s23, v79
	v_add_f16_e32 v77, v80, v77
	v_mul_f16_e32 v80, 0x33a8, v49
	v_fma_f16 v81, v48, s2, -v80
	v_add_f16_e32 v77, v81, v77
	v_mul_f16_e32 v81, 0x3770, v52
	v_fma_f16 v82, v51, s4, -v81
	;; [unrolled: 3-line block ×3, first 2 shown]
	v_add_f16_e32 v77, v83, v77
	v_mul_f16_e32 v83, 0xb94e, v58
	v_fma_f16 v84, v57, s3, v83
	v_mul_f16_e32 v85, 0x3bf1, v62
	v_add_f16_e32 v84, v10, v84
	v_fma_f16 v86, v61, s16, v85
	v_add_f16_e32 v84, v86, v84
	v_mul_f16_e32 v86, 0xba95, v65
	v_fma_f16 v87, v64, s14, v86
	v_add_f16_e32 v84, v87, v84
	v_mul_f16_e32 v87, 0x33a8, v68
	;; [unrolled: 3-line block ×5, first 2 shown]
	s_movk_i32 s22, 0x3b7b
	s_mov_b32 s21, 0xb94e
	v_fma_f16 v91, v40, s22, v90
	v_mul_f16_e32 v92, 0xb9fd, v42
	v_add_f16_e32 v91, v18, v91
	v_fma_f16 v93, v44, s21, v92
	v_add_f16_e32 v91, v93, v91
	v_mul_f16_e32 v93, 0x3b15, v45
	v_fma_f16 v94, v47, s5, v93
	v_add_f16_e32 v91, v94, v91
	v_mul_f16_e32 v94, 0xbbf1, v49
	v_fma_f16 v95, v48, s16, -v94
	v_add_f16_e32 v91, v95, v91
	v_mul_f16_e32 v95, 0x33a8, v52
	v_fma_f16 v96, v51, s2, -v95
	;; [unrolled: 3-line block ×3, first 2 shown]
	v_add_f16_e32 v91, v97, v91
	v_mul_f16_e32 v97, 0xbb7b, v58
	v_fma_f16 v98, v57, s15, v97
	v_mul_f16_e32 v99, 0x394e, v62
	v_add_f16_e32 v98, v10, v98
	v_fma_f16 v100, v61, s3, v99
	v_add_f16_e32 v98, v100, v98
	v_mul_f16_e32 v100, 0x3770, v65
	v_fma_f16 v101, v64, s4, v100
	v_add_f16_e32 v98, v101, v98
	v_mul_f16_e32 v101, 0xbbf1, v68
	;; [unrolled: 3-line block ×4, first 2 shown]
	v_fma_f16 v104, v73, s14, v103
	s_movk_i32 s20, 0x3bf1
	v_add_f16_e32 v98, v104, v98
	v_mul_f16_e32 v104, 0x2fb7, v14
	v_fma_f16 v105, v40, s20, v104
	v_mul_f16_e32 v106, 0xbbc4, v42
	v_add_f16_e32 v105, v18, v105
	v_fma_f16 v107, v44, s24, v106
	s_mov_b32 s17, 0xbb7b
	v_add_f16_e32 v105, v107, v105
	v_mul_f16_e32 v107, 0xb5ac, v45
	v_fma_f16 v108, v47, s17, v107
	v_add_f16_e32 v105, v108, v105
	v_mul_f16_e32 v108, 0x3770, v49
	v_fma_f16 v109, v48, s4, -v108
	v_add_f16_e32 v105, v109, v105
	v_mul_f16_e32 v109, 0xba95, v52
	v_fma_f16 v110, v51, s14, -v109
	;; [unrolled: 3-line block ×3, first 2 shown]
	v_add_f16_e32 v105, v111, v105
	v_mul_f16_e32 v111, 0xbbf1, v58
	v_fma_f16 v112, v57, s16, v111
	v_mul_f16_e32 v113, 0xb3a8, v62
	v_add_f16_e32 v112, v10, v112
	v_fma_f16 v114, v61, s2, v113
	v_add_f16_e32 v112, v114, v112
	v_mul_f16_e32 v114, 0x3b7b, v65
	v_fma_f16 v115, v64, s15, v114
	v_add_f16_e32 v112, v115, v112
	v_mul_f16_e32 v115, 0x3770, v68
	v_add_f16_e32 v11, v11, v10
	v_fma_f16 v116, v67, s4, v115
	v_add_f16_e32 v11, v12, v11
	v_add_f16_e32 v112, v116, v112
	v_mul_f16_e32 v116, 0xba95, v71
	v_add_f16_e32 v11, v13, v11
	v_fma_f16 v117, v70, s14, v116
	v_add_f16_e32 v4, v4, v11
	;; [unrolled: 5-line block ×3, first 2 shown]
	v_add_f16_e32 v112, v118, v112
	v_mul_f16_e32 v118, 0x388b, v14
	v_add_f16_e32 v4, v15, v4
	v_fma_f16 v119, v40, s23, v118
	v_mul_f16_e32 v120, 0xb5ac, v42
	v_add_f16_e32 v4, v6, v4
	v_add_f16_e32 v119, v18, v119
	v_fma_f16 v121, v44, s22, v120
	v_add_f16_e32 v4, v7, v4
	v_mul_f16_e32 v7, 0x388b, v42
	v_add_f16_e32 v119, v121, v119
	v_mul_f16_e32 v121, 0xbbc4, v45
	v_fma_f16 v42, v44, s23, v7
	s_mov_b32 s23, 0xb3a8
	v_fma_f16 v122, v47, s24, v121
	s_movk_i32 s24, 0x3770
	v_add_f16_e32 v2, v2, v4
	v_fma_f16 v4, v40, s23, v21
	v_add_f16_e32 v2, v3, v2
	v_add_f16_e32 v3, v19, v18
	;; [unrolled: 1-line block ×3, first 2 shown]
	v_fma_f16 v19, v44, s24, v43
	v_add_f16_e32 v4, v19, v4
	v_fma_f16 v19, v47, s21, v46
	v_add_f16_e32 v4, v19, v4
	;; [unrolled: 2-line block ×5, first 2 shown]
	v_fma_f16 v19, v57, s2, -v59
	v_add_f16_e32 v3, v20, v3
	v_add_f16_e32 v19, v10, v19
	v_fma_f16 v20, v61, s4, -v63
	v_add_f16_e32 v19, v20, v19
	v_fma_f16 v20, v64, s3, -v66
	v_add_f16_e32 v19, v20, v19
	v_fma_f16 v20, v67, s14, -v69
	v_add_f16_e32 v19, v20, v19
	v_fma_f16 v20, v70, s15, -v72
	v_add_f16_e32 v19, v20, v19
	v_fma_f16 v20, v73, s16, -v75
	v_add_f16_e32 v19, v20, v19
	v_fma_f16 v20, v40, s21, v76
	s_mov_b32 s25, 0xba95
	v_add_f16_e32 v20, v18, v20
	v_fma_f16 v21, v44, s20, v78
	v_add_f16_e32 v20, v21, v20
	v_fma_f16 v21, v47, s25, v79
	;; [unrolled: 2-line block ×5, first 2 shown]
	v_add_f16_e32 v20, v21, v20
	v_fma_f16 v21, v57, s3, -v83
	v_add_f16_e32 v3, v29, v3
	v_add_f16_e32 v21, v10, v21
	v_fma_f16 v29, v61, s16, -v85
	v_add_f16_e32 v21, v29, v21
	v_fma_f16 v29, v64, s14, -v86
	;; [unrolled: 2-line block ×5, first 2 shown]
	v_add_f16_e32 v21, v29, v21
	v_fma_f16 v29, v40, s17, v90
	v_add_f16_e32 v3, v30, v3
	v_add_f16_e32 v29, v18, v29
	v_fma_f16 v30, v44, s19, v92
	v_add_f16_e32 v29, v30, v29
	v_fma_f16 v30, v47, s24, v93
	;; [unrolled: 2-line block ×5, first 2 shown]
	v_add_f16_e32 v29, v30, v29
	v_fma_f16 v30, v57, s15, -v97
	v_add_f16_e32 v3, v31, v3
	v_add_f16_e32 v30, v10, v30
	v_fma_f16 v31, v61, s3, -v99
	v_add_f16_e32 v3, v38, v3
	;; [unrolled: 3-line block ×6, first 2 shown]
	v_add_f16_e32 v30, v31, v30
	v_fma_f16 v31, v40, s18, v104
	v_add_f16_e32 v3, v32, v3
	v_add_f16_e32 v31, v18, v31
	v_fma_f16 v32, v44, s23, v106
	v_add_f16_e32 v31, v32, v31
	v_fma_f16 v32, v47, s22, v107
	;; [unrolled: 2-line block ×5, first 2 shown]
	v_add_f16_e32 v31, v32, v31
	v_fma_f16 v32, v57, s16, -v111
	v_add_f16_e32 v2, v33, v2
	v_add_f16_e32 v32, v10, v32
	v_fma_f16 v33, v61, s2, -v113
	v_add_f16_e32 v32, v33, v32
	v_fma_f16 v33, v64, s15, -v114
	v_add_f16_e32 v119, v122, v119
	v_mul_f16_e32 v122, 0x394e, v49
	v_add_f16_e32 v32, v33, v32
	v_fma_f16 v33, v67, s4, -v115
	v_fma_f16 v123, v48, s3, -v122
	v_add_f16_e32 v32, v33, v32
	v_fma_f16 v33, v70, s14, -v116
	v_add_f16_e32 v119, v123, v119
	v_mul_f16_e32 v123, 0x3bf1, v52
	v_add_f16_e32 v32, v33, v32
	v_fma_f16 v33, v73, s3, -v117
	v_fma_f16 v124, v51, s16, -v123
	v_add_f16_e32 v32, v33, v32
	v_fma_f16 v33, v40, s25, v118
	v_add_f16_e32 v119, v124, v119
	v_mul_f16_e32 v124, 0x3770, v55
	v_add_f16_e32 v33, v18, v33
	v_fma_f16 v34, v44, s17, v120
	v_fma_f16 v125, v54, s4, -v124
	v_add_f16_e32 v33, v34, v33
	v_fma_f16 v34, v47, s23, v121
	v_add_f16_e32 v119, v125, v119
	v_mul_f16_e32 v125, 0xba95, v58
	v_add_f16_e32 v33, v34, v33
	v_fma_f16 v34, v48, s3, v122
	v_fma_f16 v12, v57, s14, v125
	v_mul_f16_e32 v13, 0xbb7b, v62
	v_add_f16_e32 v33, v34, v33
	v_fma_f16 v34, v51, s16, v123
	v_add_f16_e32 v12, v10, v12
	v_fma_f16 v126, v61, s15, v13
	v_mul_f16_e32 v5, 0xb3a8, v65
	v_mul_f16_e32 v14, 0x3b15, v14
	v_add_f16_e32 v33, v34, v33
	v_fma_f16 v34, v54, s4, v124
	v_add_f16_e32 v12, v126, v12
	v_fma_f16 v11, v64, s2, v5
	v_fma_f16 v6, v40, s24, v14
	v_add_f16_e32 v33, v34, v33
	v_fma_f16 v34, v57, s14, -v125
	v_add_f16_e32 v11, v11, v12
	v_mul_f16_e32 v12, 0x394e, v68
	v_add_f16_e32 v6, v18, v6
	v_add_f16_e32 v34, v10, v34
	v_fma_f16 v13, v61, s15, -v13
	v_fma_f16 v126, v67, s3, v12
	v_mul_f16_e32 v15, 0x3bf1, v71
	v_add_f16_e32 v6, v42, v6
	v_mul_f16_e32 v42, 0x2fb7, v45
	v_add_f16_e32 v13, v13, v34
	v_fma_f16 v5, v64, s2, -v5
	v_add_f16_e32 v11, v126, v11
	v_fma_f16 v126, v70, s16, v15
	v_fma_f16 v45, v47, s20, v42
	v_add_f16_e32 v5, v5, v13
	v_fma_f16 v12, v67, s3, -v12
	v_add_f16_e32 v11, v126, v11
	v_mul_f16_e32 v126, 0x3770, v74
	v_add_f16_e32 v6, v45, v6
	v_mul_f16_e32 v45, 0xbb7b, v49
	v_add_f16_e32 v5, v12, v5
	v_fma_f16 v12, v70, s16, -v15
	v_fma_f16 v49, v48, s15, -v45
	v_add_f16_e32 v5, v12, v5
	v_fma_f16 v12, v73, s4, -v126
	v_add_f16_e32 v6, v49, v6
	v_mul_f16_e32 v49, 0xb94e, v52
	v_add_f16_e32 v5, v12, v5
	v_fma_f16 v12, v40, s5, v14
	v_fma_f16 v52, v51, s3, -v49
	v_add_f16_e32 v12, v18, v12
	v_fma_f16 v7, v44, s25, v7
	v_add_f16_e32 v6, v52, v6
	v_mul_f16_e32 v52, 0xb3a8, v55
	v_add_f16_e32 v7, v7, v12
	v_fma_f16 v12, v47, s18, v42
	v_fma_f16 v55, v54, s2, -v52
	v_add_f16_e32 v7, v12, v7
	v_fma_f16 v12, v48, s15, v45
	v_add_f16_e32 v6, v55, v6
	v_mul_f16_e32 v55, 0xb770, v58
	v_add_f16_e32 v7, v12, v7
	v_fma_f16 v12, v51, s3, v49
	v_fma_f16 v127, v73, s4, v126
	;; [unrolled: 1-line block ×3, first 2 shown]
	v_mul_f16_e32 v62, 0xba95, v62
	v_add_f16_e32 v7, v12, v7
	v_fma_f16 v12, v54, s2, v52
	v_add_f16_e32 v11, v127, v11
	v_add_f16_e32 v58, v10, v58
	v_fma_f16 v127, v61, s14, v62
	v_mul_f16_e32 v65, 0xbbf1, v65
	v_add_f16_e32 v7, v12, v7
	v_fma_f16 v12, v57, s4, -v55
	v_add_f16_e32 v58, v127, v58
	v_fma_f16 v127, v64, s16, v65
	v_mul_f16_e32 v68, 0xbb7b, v68
	v_add_f16_e32 v10, v10, v12
	v_fma_f16 v12, v61, s14, -v62
	v_add_f16_e32 v58, v127, v58
	v_fma_f16 v127, v67, s15, v68
	v_mul_f16_e32 v71, 0xb94e, v71
	v_add_f16_e32 v10, v12, v10
	v_fma_f16 v12, v64, s16, -v65
	v_add_f16_e32 v58, v127, v58
	v_fma_f16 v127, v70, s3, v71
	v_mul_f16_e32 v74, 0xb3a8, v74
	v_add_f16_e32 v10, v12, v10
	v_fma_f16 v12, v67, s15, -v68
	v_add_f16_e32 v58, v127, v58
	v_fma_f16 v127, v73, s2, v74
	v_add_f16_e32 v10, v12, v10
	v_fma_f16 v12, v70, s3, -v71
	v_add_f16_e32 v58, v127, v58
	v_add_f16_sdwa v3, v37, v3 dst_sel:DWORD dst_unused:UNUSED_PAD src0_sel:WORD_1 src1_sel:DWORD
	v_add_f16_e32 v10, v12, v10
	v_fma_f16 v12, v73, s2, -v74
	v_add_f16_e32 v10, v12, v10
	v_lshl_add_u32 v12, v28, 2, v27
	v_pack_b32_f16 v6, v58, v6
	v_pack_b32_f16 v2, v2, v3
	ds_write2_b32 v12, v2, v6 offset1:1
	v_pack_b32_f16 v2, v112, v105
	v_pack_b32_f16 v3, v11, v119
	ds_write2_b32 v12, v3, v2 offset0:2 offset1:3
	v_pack_b32_f16 v2, v84, v77
	v_pack_b32_f16 v3, v98, v91
	ds_write2_b32 v12, v3, v2 offset0:4 offset1:5
	;; [unrolled: 3-line block ×5, first 2 shown]
	v_pack_b32_f16 v2, v10, v7
	ds_write_b32 v12, v2 offset:48
.LBB0_13:
	s_or_b64 exec, exec, s[0:1]
	s_waitcnt lgkmcnt(0)
	s_barrier
	ds_read2_b32 v[2:3], v17 offset1:13
	ds_read_b32 v4, v17 offset:104
	s_mov_b32 s0, 0xbaee
	s_movk_i32 s1, 0x3aee
	s_waitcnt lgkmcnt(1)
	v_lshrrev_b32_e32 v6, 16, v3
	v_mul_f16_sdwa v10, v8, v6 dst_sel:DWORD dst_unused:UNUSED_PAD src0_sel:WORD_1 src1_sel:DWORD
	s_waitcnt lgkmcnt(0)
	v_lshrrev_b32_e32 v7, 16, v4
	v_fma_f16 v10, v8, v3, v10
	v_mul_f16_sdwa v3, v8, v3 dst_sel:DWORD dst_unused:UNUSED_PAD src0_sel:WORD_1 src1_sel:DWORD
	v_fma_f16 v3, v8, v6, -v3
	v_mul_f16_sdwa v6, v9, v7 dst_sel:DWORD dst_unused:UNUSED_PAD src0_sel:WORD_1 src1_sel:DWORD
	v_fma_f16 v6, v9, v4, v6
	v_mul_f16_sdwa v4, v9, v4 dst_sel:DWORD dst_unused:UNUSED_PAD src0_sel:WORD_1 src1_sel:DWORD
	v_fma_f16 v4, v9, v7, -v4
	v_add_f16_e32 v8, v10, v6
	v_lshrrev_b32_e32 v5, 16, v2
	v_add_f16_e32 v7, v2, v10
	v_fma_f16 v2, v8, -0.5, v2
	v_sub_f16_e32 v8, v3, v4
	v_fma_f16 v9, v8, s0, v2
	v_fma_f16 v2, v8, s1, v2
	v_add_f16_e32 v8, v5, v3
	v_add_f16_e32 v3, v3, v4
	;; [unrolled: 1-line block ×3, first 2 shown]
	v_fma_f16 v3, v3, -0.5, v5
	v_sub_f16_e32 v4, v10, v6
	v_add_f16_e32 v7, v7, v6
	v_fma_f16 v5, v4, s1, v3
	v_fma_f16 v3, v4, s0, v3
	v_pack_b32_f16 v4, v7, v8
	v_pack_b32_f16 v5, v9, v5
	;; [unrolled: 1-line block ×3, first 2 shown]
	ds_write2_b32 v16, v4, v5 offset1:13
	ds_write_b32 v16, v2 offset:104
	s_waitcnt lgkmcnt(0)
	s_barrier
	s_and_b64 exec, exec, vcc
	s_cbranch_execz .LBB0_15
; %bb.14:
	global_load_dword v9, v24, s[6:7]
	global_load_dword v10, v24, s[6:7] offset:12
	ds_read_b32 v16, v16
	v_mad_u64_u32 v[2:3], s[0:1], s10, v1, 0
	v_mad_u64_u32 v[4:5], s[0:1], s8, v25, 0
	v_mov_b32_e32 v6, 0x7c00
	v_lshl_add_u32 v7, v26, 2, v24
	v_mad_u64_u32 v[19:20], s[0:1], s11, v1, v[3:4]
	s_waitcnt lgkmcnt(0)
	v_lshrrev_b32_e32 v1, 16, v16
	v_mad_u64_u32 v[25:26], s[0:1], s9, v25, v[5:6]
	s_mov_b32 s14, 0x1a41a41a
	s_mov_b32 s15, 0x3f9a41a4
	v_mov_b32_e32 v5, v25
	s_movk_i32 s18, 0x1ff
	s_movk_i32 s17, 0xffe
	global_load_dword v11, v24, s[6:7] offset:24
	global_load_dword v12, v24, s[6:7] offset:36
	;; [unrolled: 1-line block ×6, first 2 shown]
	ds_read2_b32 v[17:18], v7 offset0:3 offset1:6
	s_movk_i32 s16, 0x40f
	s_mov_b32 s10, 0x8000
	v_lshlrev_b64 v[4:5], 2, v[4:5]
	s_waitcnt vmcnt(7)
	v_mul_f16_sdwa v3, v1, v9 dst_sel:DWORD dst_unused:UNUSED_PAD src0_sel:DWORD src1_sel:WORD_1
	v_fma_f16 v3, v16, v9, v3
	v_mul_f16_sdwa v16, v16, v9 dst_sel:DWORD dst_unused:UNUSED_PAD src0_sel:DWORD src1_sel:WORD_1
	v_cvt_f32_f16_e32 v3, v3
	v_fma_f16 v1, v9, v1, -v16
	v_cvt_f32_f16_e32 v1, v1
	v_cvt_f64_f32_e32 v[20:21], v3
	v_mov_b32_e32 v3, v19
	v_cvt_f64_f32_e32 v[26:27], v1
	s_waitcnt lgkmcnt(0)
	v_lshrrev_b32_e32 v1, 16, v17
	v_mul_f64 v[20:21], v[20:21], s[14:15]
	s_waitcnt vmcnt(6)
	v_mul_f16_sdwa v9, v1, v10 dst_sel:DWORD dst_unused:UNUSED_PAD src0_sel:DWORD src1_sel:WORD_1
	v_mul_f64 v[25:26], v[26:27], s[14:15]
	v_fma_f16 v9, v17, v10, v9
	v_cvt_f32_f16_e32 v9, v9
	v_lshlrev_b64 v[2:3], 2, v[2:3]
	v_mul_f16_sdwa v17, v17, v10 dst_sel:DWORD dst_unused:UNUSED_PAD src0_sel:DWORD src1_sel:WORD_1
	v_fma_f16 v1, v10, v1, -v17
	v_and_or_b32 v16, v21, s18, v20
	v_cmp_ne_u32_e32 vcc, 0, v16
	v_and_or_b32 v25, v26, s18, v25
	v_lshrrev_b32_e32 v19, 8, v21
	v_bfe_u32 v20, v21, 20, 11
	v_cndmask_b32_e64 v16, 0, 1, vcc
	v_cmp_ne_u32_e32 vcc, 0, v25
	v_lshrrev_b32_e32 v27, 8, v26
	v_bfe_u32 v28, v26, 20, 11
	v_sub_u32_e32 v29, 0x3f1, v20
	v_cndmask_b32_e64 v25, 0, 1, vcc
	v_and_or_b32 v16, v19, s17, v16
	v_sub_u32_e32 v30, 0x3f1, v28
	v_med3_i32 v19, v29, 0, 13
	v_and_or_b32 v25, v27, s17, v25
	v_or_b32_e32 v29, 0x1000, v16
	v_add_u32_e32 v20, 0xfffffc10, v20
	v_med3_i32 v27, v30, 0, 13
	v_cmp_ne_u32_e32 vcc, 0, v16
	v_or_b32_e32 v31, 0x1000, v25
	v_lshrrev_b32_e32 v33, v19, v29
	v_add_u32_e32 v28, 0xfffffc10, v28
	v_lshl_or_b32 v30, v20, 12, v16
	v_cndmask_b32_e64 v16, 0, 1, vcc
	v_cmp_ne_u32_e32 vcc, 0, v25
	v_lshrrev_b32_e32 v34, v27, v31
	v_lshlrev_b32_e32 v19, v19, v33
	v_lshl_or_b32 v32, v28, 12, v25
	v_cndmask_b32_e64 v25, 0, 1, vcc
	v_lshlrev_b32_e32 v27, v27, v34
	v_cmp_ne_u32_e32 vcc, v19, v29
	v_cndmask_b32_e64 v19, 0, 1, vcc
	v_cmp_ne_u32_e32 vcc, v27, v31
	v_cndmask_b32_e64 v27, 0, 1, vcc
	v_or_b32_e32 v19, v33, v19
	v_cmp_gt_i32_e32 vcc, 1, v20
	v_cndmask_b32_e32 v19, v30, v19, vcc
	v_or_b32_e32 v27, v34, v27
	v_cmp_gt_i32_e32 vcc, 1, v28
	v_and_b32_e32 v29, 7, v19
	v_cndmask_b32_e32 v27, v32, v27, vcc
	v_cmp_lt_i32_e32 vcc, 5, v29
	v_cmp_eq_u32_e64 s[0:1], 3, v29
	v_lshrrev_b32_e32 v19, 2, v19
	v_and_b32_e32 v30, 7, v27
	s_or_b64 vcc, s[0:1], vcc
	v_cmp_lt_i32_e64 s[2:3], 5, v30
	v_cmp_eq_u32_e64 s[4:5], 3, v30
	v_addc_co_u32_e32 v19, vcc, 0, v19, vcc
	v_lshrrev_b32_e32 v27, 2, v27
	s_or_b64 vcc, s[4:5], s[2:3]
	v_addc_co_u32_e32 v27, vcc, 0, v27, vcc
	v_cmp_gt_i32_e32 vcc, 31, v20
	v_cndmask_b32_e32 v19, v6, v19, vcc
	v_cmp_gt_i32_e32 vcc, 31, v28
	v_lshl_or_b32 v16, v16, 9, v6
	v_cndmask_b32_e32 v27, v6, v27, vcc
	v_cmp_eq_u32_e32 vcc, s16, v20
	v_lshrrev_b32_e32 v21, 16, v21
	v_lshl_or_b32 v25, v25, 9, v6
	v_cndmask_b32_e32 v16, v19, v16, vcc
	v_cmp_eq_u32_e32 vcc, s16, v28
	v_lshrrev_b32_e32 v26, 16, v26
	v_cndmask_b32_e32 v19, v27, v25, vcc
	v_and_or_b32 v16, v21, s10, v16
	v_and_or_b32 v19, v26, s10, v19
	v_and_b32_e32 v16, 0xffff, v16
	v_lshl_or_b32 v16, v19, 16, v16
	v_cvt_f64_f32_e32 v[19:20], v9
	v_mov_b32_e32 v21, s13
	v_add_co_u32_e32 v2, vcc, s12, v2
	v_mul_f64 v[19:20], v[19:20], s[14:15]
	v_addc_co_u32_e32 v3, vcc, v21, v3, vcc
	v_add_co_u32_e32 v4, vcc, v2, v4
	v_addc_co_u32_e32 v5, vcc, v3, v5, vcc
	global_store_dword v[4:5], v16, off
	v_and_or_b32 v9, v20, s18, v19
	v_cmp_ne_u32_e32 vcc, 0, v9
	v_cndmask_b32_e64 v9, 0, 1, vcc
	v_lshrrev_b32_e32 v16, 8, v20
	v_bfe_u32 v19, v20, 20, 11
	v_and_or_b32 v16, v16, s17, v9
	v_sub_u32_e32 v21, 0x3f1, v19
	v_or_b32_e32 v9, 0x1000, v16
	v_med3_i32 v21, v21, 0, 13
	v_lshrrev_b32_e32 v27, v21, v9
	v_lshlrev_b32_e32 v21, v21, v27
	v_cmp_ne_u32_e32 vcc, v21, v9
	v_cvt_f32_f16_e32 v1, v1
	v_cndmask_b32_e64 v9, 0, 1, vcc
	v_add_u32_e32 v19, 0xfffffc10, v19
	v_or_b32_e32 v9, v27, v9
	v_lshl_or_b32 v21, v19, 12, v16
	v_cmp_gt_i32_e32 vcc, 1, v19
	v_cndmask_b32_e32 v9, v21, v9, vcc
	v_and_b32_e32 v21, 7, v9
	v_lshrrev_b32_e32 v17, 2, v9
	v_cvt_f64_f32_e32 v[9:10], v1
	v_cmp_lt_i32_e32 vcc, 5, v21
	v_cmp_eq_u32_e64 s[0:1], 3, v21
	s_or_b64 vcc, s[0:1], vcc
	v_mul_f64 v[9:10], v[9:10], s[14:15]
	v_addc_co_u32_e32 v1, vcc, 0, v17, vcc
	v_cmp_gt_i32_e32 vcc, 31, v19
	v_cndmask_b32_e32 v1, v6, v1, vcc
	v_cmp_ne_u32_e32 vcc, 0, v16
	v_cndmask_b32_e64 v16, 0, 1, vcc
	v_lshl_or_b32 v16, v16, 9, v6
	v_cmp_eq_u32_e32 vcc, s16, v19
	v_and_or_b32 v9, v10, s18, v9
	v_cndmask_b32_e32 v1, v1, v16, vcc
	v_lshrrev_b32_e32 v16, 16, v20
	v_cmp_ne_u32_e32 vcc, 0, v9
	v_and_or_b32 v1, v16, s10, v1
	v_cndmask_b32_e64 v9, 0, 1, vcc
	v_lshrrev_b32_e32 v16, 8, v10
	v_bfe_u32 v17, v10, 20, 11
	v_and_or_b32 v9, v16, s17, v9
	v_sub_u32_e32 v19, 0x3f1, v17
	v_or_b32_e32 v16, 0x1000, v9
	v_med3_i32 v19, v19, 0, 13
	v_lshrrev_b32_e32 v20, v19, v16
	v_lshlrev_b32_e32 v19, v19, v20
	v_cmp_ne_u32_e32 vcc, v19, v16
	v_cndmask_b32_e64 v16, 0, 1, vcc
	v_add_u32_e32 v17, 0xfffffc10, v17
	v_or_b32_e32 v16, v20, v16
	v_lshl_or_b32 v19, v17, 12, v9
	v_cmp_gt_i32_e32 vcc, 1, v17
	v_cndmask_b32_e32 v16, v19, v16, vcc
	v_and_b32_e32 v19, 7, v16
	v_cmp_lt_i32_e32 vcc, 5, v19
	v_cmp_eq_u32_e64 s[0:1], 3, v19
	v_lshrrev_b32_e32 v16, 2, v16
	s_or_b64 vcc, s[0:1], vcc
	v_addc_co_u32_e32 v16, vcc, 0, v16, vcc
	v_cmp_gt_i32_e32 vcc, 31, v17
	v_cndmask_b32_e32 v16, v6, v16, vcc
	v_cmp_ne_u32_e32 vcc, 0, v9
	v_cndmask_b32_e64 v9, 0, 1, vcc
	v_lshl_or_b32 v9, v9, 9, v6
	v_cmp_eq_u32_e32 vcc, s16, v17
	v_cndmask_b32_e32 v9, v16, v9, vcc
	v_lshrrev_b32_e32 v16, 16, v18
	s_waitcnt vmcnt(6)
	v_mul_f16_sdwa v17, v16, v11 dst_sel:DWORD dst_unused:UNUSED_PAD src0_sel:DWORD src1_sel:WORD_1
	v_fma_f16 v17, v18, v11, v17
	v_cvt_f32_f16_e32 v17, v17
	v_lshrrev_b32_e32 v10, 16, v10
	v_and_or_b32 v9, v10, s10, v9
	v_and_b32_e32 v1, 0xffff, v1
	v_lshl_or_b32 v1, v9, 16, v1
	v_cvt_f64_f32_e32 v[9:10], v17
	s_mul_i32 s0, s9, 12
	s_mul_hi_u32 s2, s8, 12
	s_add_i32 s2, s2, s0
	v_mul_f64 v[9:10], v[9:10], s[14:15]
	s_mul_i32 s3, s8, 12
	v_mov_b32_e32 v17, s2
	v_add_co_u32_e32 v4, vcc, s3, v4
	v_addc_co_u32_e32 v5, vcc, v5, v17, vcc
	global_store_dword v[4:5], v1, off
	v_and_or_b32 v1, v10, s18, v9
	v_cmp_ne_u32_e32 vcc, 0, v1
	v_cndmask_b32_e64 v1, 0, 1, vcc
	v_lshrrev_b32_e32 v9, 8, v10
	v_bfe_u32 v17, v10, 20, 11
	v_and_or_b32 v1, v9, s17, v1
	v_sub_u32_e32 v19, 0x3f1, v17
	v_or_b32_e32 v9, 0x1000, v1
	v_med3_i32 v19, v19, 0, 13
	v_lshrrev_b32_e32 v20, v19, v9
	v_lshlrev_b32_e32 v19, v19, v20
	v_mul_f16_sdwa v18, v18, v11 dst_sel:DWORD dst_unused:UNUSED_PAD src0_sel:DWORD src1_sel:WORD_1
	v_cmp_ne_u32_e32 vcc, v19, v9
	v_fma_f16 v11, v11, v16, -v18
	v_cndmask_b32_e64 v9, 0, 1, vcc
	v_add_u32_e32 v19, 0xfffffc10, v17
	v_cvt_f32_f16_e32 v11, v11
	v_or_b32_e32 v9, v20, v9
	v_lshl_or_b32 v17, v19, 12, v1
	v_cmp_gt_i32_e32 vcc, 1, v19
	v_cndmask_b32_e32 v9, v17, v9, vcc
	v_and_b32_e32 v17, 7, v9
	v_cmp_lt_i32_e32 vcc, 5, v17
	v_cmp_eq_u32_e64 s[0:1], 3, v17
	v_cvt_f64_f32_e32 v[16:17], v11
	v_lshrrev_b32_e32 v9, 2, v9
	s_or_b64 vcc, s[0:1], vcc
	v_addc_co_u32_e32 v9, vcc, 0, v9, vcc
	v_mul_f64 v[16:17], v[16:17], s[14:15]
	v_cmp_gt_i32_e32 vcc, 31, v19
	v_cndmask_b32_e32 v9, v6, v9, vcc
	v_cmp_ne_u32_e32 vcc, 0, v1
	v_cndmask_b32_e64 v1, 0, 1, vcc
	v_lshl_or_b32 v1, v1, 9, v6
	v_cmp_eq_u32_e32 vcc, s16, v19
	v_cndmask_b32_e32 v1, v9, v1, vcc
	v_lshrrev_b32_e32 v9, 16, v10
	v_and_or_b32 v1, v9, s10, v1
	v_and_or_b32 v9, v17, s18, v16
	v_cmp_ne_u32_e32 vcc, 0, v9
	v_cndmask_b32_e64 v9, 0, 1, vcc
	v_lshrrev_b32_e32 v10, 8, v17
	v_bfe_u32 v11, v17, 20, 11
	v_and_or_b32 v9, v10, s17, v9
	v_sub_u32_e32 v16, 0x3f1, v11
	v_or_b32_e32 v10, 0x1000, v9
	v_med3_i32 v16, v16, 0, 13
	v_lshrrev_b32_e32 v18, v16, v10
	v_lshlrev_b32_e32 v16, v16, v18
	ds_read2_b32 v[25:26], v7 offset0:9 offset1:12
	v_cmp_ne_u32_e32 vcc, v16, v10
	v_cndmask_b32_e64 v10, 0, 1, vcc
	v_add_u32_e32 v11, 0xfffffc10, v11
	v_or_b32_e32 v10, v18, v10
	v_lshl_or_b32 v16, v11, 12, v9
	v_cmp_gt_i32_e32 vcc, 1, v11
	v_cndmask_b32_e32 v10, v16, v10, vcc
	v_and_b32_e32 v16, 7, v10
	v_cmp_lt_i32_e32 vcc, 5, v16
	v_cmp_eq_u32_e64 s[0:1], 3, v16
	s_waitcnt lgkmcnt(0)
	v_lshrrev_b32_e32 v16, 16, v25
	v_lshrrev_b32_e32 v10, 2, v10
	s_or_b64 vcc, s[0:1], vcc
	s_waitcnt vmcnt(6)
	v_mul_f16_sdwa v18, v16, v12 dst_sel:DWORD dst_unused:UNUSED_PAD src0_sel:DWORD src1_sel:WORD_1
	v_addc_co_u32_e32 v10, vcc, 0, v10, vcc
	v_fma_f16 v18, v25, v12, v18
	v_cmp_gt_i32_e32 vcc, 31, v11
	v_cvt_f32_f16_e32 v18, v18
	v_cndmask_b32_e32 v10, v6, v10, vcc
	v_cmp_ne_u32_e32 vcc, 0, v9
	v_cndmask_b32_e64 v9, 0, 1, vcc
	v_lshl_or_b32 v9, v9, 9, v6
	v_cmp_eq_u32_e32 vcc, s16, v11
	v_cndmask_b32_e32 v11, v10, v9, vcc
	v_cvt_f64_f32_e32 v[9:10], v18
	v_lshrrev_b32_e32 v17, 16, v17
	v_and_or_b32 v11, v17, s10, v11
	v_and_b32_e32 v1, 0xffff, v1
	v_mul_f64 v[9:10], v[9:10], s[14:15]
	v_lshl_or_b32 v1, v11, 16, v1
	v_mov_b32_e32 v11, s2
	v_add_co_u32_e32 v4, vcc, s3, v4
	v_addc_co_u32_e32 v5, vcc, v5, v11, vcc
	global_store_dword v[4:5], v1, off
	v_and_or_b32 v1, v10, s18, v9
	v_cmp_ne_u32_e32 vcc, 0, v1
	v_cndmask_b32_e64 v1, 0, 1, vcc
	v_lshrrev_b32_e32 v9, 8, v10
	v_bfe_u32 v11, v10, 20, 11
	v_and_or_b32 v1, v9, s17, v1
	v_sub_u32_e32 v17, 0x3f1, v11
	v_or_b32_e32 v9, 0x1000, v1
	v_med3_i32 v17, v17, 0, 13
	v_lshrrev_b32_e32 v18, v17, v9
	v_lshlrev_b32_e32 v17, v17, v18
	v_cmp_ne_u32_e32 vcc, v17, v9
	v_cndmask_b32_e64 v9, 0, 1, vcc
	v_or_b32_e32 v9, v18, v9
	v_mul_f16_sdwa v18, v25, v12 dst_sel:DWORD dst_unused:UNUSED_PAD src0_sel:DWORD src1_sel:WORD_1
	v_fma_f16 v12, v12, v16, -v18
	v_add_u32_e32 v17, 0xfffffc10, v11
	v_cvt_f32_f16_e32 v12, v12
	v_lshl_or_b32 v11, v17, 12, v1
	v_cmp_gt_i32_e32 vcc, 1, v17
	v_cndmask_b32_e32 v9, v11, v9, vcc
	v_and_b32_e32 v11, 7, v9
	v_cmp_lt_i32_e32 vcc, 5, v11
	v_cmp_eq_u32_e64 s[0:1], 3, v11
	v_cvt_f64_f32_e32 v[11:12], v12
	v_lshrrev_b32_e32 v9, 2, v9
	s_or_b64 vcc, s[0:1], vcc
	v_addc_co_u32_e32 v9, vcc, 0, v9, vcc
	v_mul_f64 v[11:12], v[11:12], s[14:15]
	v_cmp_gt_i32_e32 vcc, 31, v17
	v_cndmask_b32_e32 v9, v6, v9, vcc
	v_cmp_ne_u32_e32 vcc, 0, v1
	v_cndmask_b32_e64 v1, 0, 1, vcc
	v_lshl_or_b32 v1, v1, 9, v6
	v_cmp_eq_u32_e32 vcc, s16, v17
	v_cndmask_b32_e32 v1, v9, v1, vcc
	v_lshrrev_b32_e32 v9, 16, v10
	v_and_or_b32 v1, v9, s10, v1
	v_and_or_b32 v9, v12, s18, v11
	v_cmp_ne_u32_e32 vcc, 0, v9
	v_cndmask_b32_e64 v9, 0, 1, vcc
	v_lshrrev_b32_e32 v10, 8, v12
	v_bfe_u32 v11, v12, 20, 11
	v_and_or_b32 v9, v10, s17, v9
	v_sub_u32_e32 v16, 0x3f1, v11
	v_or_b32_e32 v10, 0x1000, v9
	v_med3_i32 v16, v16, 0, 13
	v_lshrrev_b32_e32 v17, v16, v10
	v_lshlrev_b32_e32 v16, v16, v17
	v_cmp_ne_u32_e32 vcc, v16, v10
	v_cndmask_b32_e64 v10, 0, 1, vcc
	v_add_u32_e32 v11, 0xfffffc10, v11
	v_or_b32_e32 v10, v17, v10
	v_lshl_or_b32 v16, v11, 12, v9
	v_cmp_gt_i32_e32 vcc, 1, v11
	v_cndmask_b32_e32 v10, v16, v10, vcc
	v_and_b32_e32 v16, 7, v10
	v_cmp_lt_i32_e32 vcc, 5, v16
	v_cmp_eq_u32_e64 s[0:1], 3, v16
	v_lshrrev_b32_e32 v16, 16, v26
	v_lshrrev_b32_e32 v10, 2, v10
	s_or_b64 vcc, s[0:1], vcc
	s_waitcnt vmcnt(6)
	v_mul_f16_sdwa v17, v16, v13 dst_sel:DWORD dst_unused:UNUSED_PAD src0_sel:DWORD src1_sel:WORD_1
	v_addc_co_u32_e32 v10, vcc, 0, v10, vcc
	v_fma_f16 v17, v26, v13, v17
	v_cmp_gt_i32_e32 vcc, 31, v11
	v_cvt_f32_f16_e32 v17, v17
	v_cndmask_b32_e32 v10, v6, v10, vcc
	v_cmp_ne_u32_e32 vcc, 0, v9
	v_cndmask_b32_e64 v9, 0, 1, vcc
	v_lshl_or_b32 v9, v9, 9, v6
	v_cmp_eq_u32_e32 vcc, s16, v11
	v_cndmask_b32_e32 v11, v10, v9, vcc
	v_cvt_f64_f32_e32 v[9:10], v17
	v_lshrrev_b32_e32 v12, 16, v12
	v_and_or_b32 v11, v12, s10, v11
	v_and_b32_e32 v1, 0xffff, v1
	v_mul_f64 v[9:10], v[9:10], s[14:15]
	v_lshl_or_b32 v1, v11, 16, v1
	v_mov_b32_e32 v11, s2
	v_add_co_u32_e32 v4, vcc, s3, v4
	v_addc_co_u32_e32 v5, vcc, v5, v11, vcc
	global_store_dword v[4:5], v1, off
	v_and_or_b32 v1, v10, s18, v9
	v_cmp_ne_u32_e32 vcc, 0, v1
	v_cndmask_b32_e64 v1, 0, 1, vcc
	v_lshrrev_b32_e32 v9, 8, v10
	v_bfe_u32 v11, v10, 20, 11
	v_and_or_b32 v1, v9, s17, v1
	v_sub_u32_e32 v12, 0x3f1, v11
	v_or_b32_e32 v9, 0x1000, v1
	v_med3_i32 v12, v12, 0, 13
	v_lshrrev_b32_e32 v17, v12, v9
	v_lshlrev_b32_e32 v12, v12, v17
	v_cmp_ne_u32_e32 vcc, v12, v9
	v_mul_f16_sdwa v12, v26, v13 dst_sel:DWORD dst_unused:UNUSED_PAD src0_sel:DWORD src1_sel:WORD_1
	v_cndmask_b32_e64 v9, 0, 1, vcc
	v_fma_f16 v12, v13, v16, -v12
	v_or_b32_e32 v9, v17, v9
	v_add_u32_e32 v17, 0xfffffc10, v11
	v_cvt_f32_f16_e32 v12, v12
	v_lshl_or_b32 v11, v17, 12, v1
	v_cmp_gt_i32_e32 vcc, 1, v17
	v_cndmask_b32_e32 v9, v11, v9, vcc
	v_and_b32_e32 v11, 7, v9
	v_cmp_lt_i32_e32 vcc, 5, v11
	v_cmp_eq_u32_e64 s[0:1], 3, v11
	v_cvt_f64_f32_e32 v[11:12], v12
	v_lshrrev_b32_e32 v9, 2, v9
	s_or_b64 vcc, s[0:1], vcc
	v_addc_co_u32_e32 v9, vcc, 0, v9, vcc
	v_mul_f64 v[11:12], v[11:12], s[14:15]
	v_cmp_gt_i32_e32 vcc, 31, v17
	v_cndmask_b32_e32 v9, v6, v9, vcc
	v_cmp_ne_u32_e32 vcc, 0, v1
	v_cndmask_b32_e64 v1, 0, 1, vcc
	v_lshl_or_b32 v1, v1, 9, v6
	v_cmp_eq_u32_e32 vcc, s16, v17
	v_cndmask_b32_e32 v1, v9, v1, vcc
	v_lshrrev_b32_e32 v9, 16, v10
	v_and_or_b32 v13, v9, s10, v1
	v_and_or_b32 v1, v12, s18, v11
	v_cmp_ne_u32_e32 vcc, 0, v1
	v_cndmask_b32_e64 v1, 0, 1, vcc
	v_lshrrev_b32_e32 v9, 8, v12
	v_bfe_u32 v10, v12, 20, 11
	v_and_or_b32 v1, v9, s17, v1
	v_sub_u32_e32 v11, 0x3f1, v10
	v_or_b32_e32 v9, 0x1000, v1
	v_med3_i32 v11, v11, 0, 13
	v_lshrrev_b32_e32 v16, v11, v9
	v_lshlrev_b32_e32 v11, v11, v16
	v_cmp_ne_u32_e32 vcc, v11, v9
	v_cndmask_b32_e64 v9, 0, 1, vcc
	v_add_u32_e32 v11, 0xfffffc10, v10
	v_or_b32_e32 v9, v16, v9
	v_lshl_or_b32 v10, v11, 12, v1
	v_cmp_gt_i32_e32 vcc, 1, v11
	v_cndmask_b32_e32 v9, v10, v9, vcc
	v_and_b32_e32 v10, 7, v9
	v_cmp_lt_i32_e32 vcc, 5, v10
	v_cmp_eq_u32_e64 s[0:1], 3, v10
	v_lshrrev_b32_e32 v9, 2, v9
	s_or_b64 vcc, s[0:1], vcc
	v_addc_co_u32_e32 v9, vcc, 0, v9, vcc
	ds_read2_b32 v[16:17], v7 offset0:15 offset1:18
	v_cmp_gt_i32_e32 vcc, 31, v11
	v_cndmask_b32_e32 v18, v6, v9, vcc
	v_mad_u64_u32 v[9:10], s[0:1], s8, v0, 0
	v_cmp_ne_u32_e32 vcc, 0, v1
	v_cndmask_b32_e64 v1, 0, 1, vcc
	v_lshl_or_b32 v1, v1, 9, v6
	v_cmp_eq_u32_e32 vcc, s16, v11
	s_waitcnt lgkmcnt(0)
	v_lshrrev_b32_e32 v19, 16, v16
	v_cndmask_b32_e32 v18, v18, v1, vcc
	v_mov_b32_e32 v1, v10
	s_waitcnt vmcnt(6)
	v_mul_f16_sdwa v10, v19, v14 dst_sel:DWORD dst_unused:UNUSED_PAD src0_sel:DWORD src1_sel:WORD_1
	v_fma_f16 v10, v16, v14, v10
	v_cvt_f32_f16_e32 v10, v10
	v_mad_u64_u32 v[0:1], s[0:1], s9, v0, v[1:2]
	v_lshrrev_b32_e32 v1, 16, v12
	v_cvt_f64_f32_e32 v[11:12], v10
	v_and_or_b32 v18, v1, s10, v18
	v_mov_b32_e32 v10, v0
	v_lshlrev_b64 v[9:10], 2, v[9:10]
	v_mul_f64 v[0:1], v[11:12], s[14:15]
	v_add_co_u32_e32 v9, vcc, v2, v9
	v_and_b32_e32 v13, 0xffff, v13
	v_addc_co_u32_e32 v10, vcc, v3, v10, vcc
	v_lshl_or_b32 v11, v18, 16, v13
	global_store_dword v[9:10], v11, off
	v_and_or_b32 v0, v1, s18, v0
	v_cmp_ne_u32_e32 vcc, 0, v0
	v_cndmask_b32_e64 v0, 0, 1, vcc
	v_lshrrev_b32_e32 v9, 8, v1
	v_bfe_u32 v10, v1, 20, 11
	v_and_or_b32 v0, v9, s17, v0
	v_sub_u32_e32 v11, 0x3f1, v10
	v_or_b32_e32 v9, 0x1000, v0
	v_med3_i32 v11, v11, 0, 13
	v_lshrrev_b32_e32 v12, v11, v9
	v_lshlrev_b32_e32 v11, v11, v12
	v_cmp_ne_u32_e32 vcc, v11, v9
	v_cndmask_b32_e64 v9, 0, 1, vcc
	v_or_b32_e32 v9, v12, v9
	v_mul_f16_sdwa v12, v16, v14 dst_sel:DWORD dst_unused:UNUSED_PAD src0_sel:DWORD src1_sel:WORD_1
	v_fma_f16 v12, v14, v19, -v12
	v_add_u32_e32 v11, 0xfffffc10, v10
	v_cvt_f32_f16_e32 v12, v12
	v_lshl_or_b32 v10, v11, 12, v0
	v_cmp_gt_i32_e32 vcc, 1, v11
	v_cndmask_b32_e32 v9, v10, v9, vcc
	v_and_b32_e32 v10, 7, v9
	v_cmp_lt_i32_e32 vcc, 5, v10
	v_cmp_eq_u32_e64 s[0:1], 3, v10
	v_lshrrev_b32_e32 v13, 2, v9
	v_cvt_f64_f32_e32 v[9:10], v12
	s_or_b64 vcc, s[0:1], vcc
	v_addc_co_u32_e32 v12, vcc, 0, v13, vcc
	v_mul_f64 v[9:10], v[9:10], s[14:15]
	v_cmp_gt_i32_e32 vcc, 31, v11
	v_cndmask_b32_e32 v12, v6, v12, vcc
	v_cmp_ne_u32_e32 vcc, 0, v0
	v_cndmask_b32_e64 v0, 0, 1, vcc
	v_lshl_or_b32 v0, v0, 9, v6
	v_cmp_eq_u32_e32 vcc, s16, v11
	v_cndmask_b32_e32 v0, v12, v0, vcc
	v_lshrrev_b32_e32 v1, 16, v1
	v_and_or_b32 v11, v1, s10, v0
	v_and_or_b32 v0, v10, s18, v9
	v_cmp_ne_u32_e32 vcc, 0, v0
	v_cndmask_b32_e64 v0, 0, 1, vcc
	v_lshrrev_b32_e32 v1, 8, v10
	v_bfe_u32 v9, v10, 20, 11
	v_and_or_b32 v0, v1, s17, v0
	v_sub_u32_e32 v12, 0x3f1, v9
	v_or_b32_e32 v1, 0x1000, v0
	v_med3_i32 v12, v12, 0, 13
	v_lshrrev_b32_e32 v13, v12, v1
	v_lshlrev_b32_e32 v12, v12, v13
	v_cmp_ne_u32_e32 vcc, v12, v1
	v_cndmask_b32_e64 v1, 0, 1, vcc
	v_add_u32_e32 v9, 0xfffffc10, v9
	v_or_b32_e32 v1, v13, v1
	v_lshl_or_b32 v12, v9, 12, v0
	v_cmp_gt_i32_e32 vcc, 1, v9
	v_cndmask_b32_e32 v1, v12, v1, vcc
	v_and_b32_e32 v12, 7, v1
	v_cmp_lt_i32_e32 vcc, 5, v12
	v_cmp_eq_u32_e64 s[0:1], 3, v12
	v_lshrrev_b32_e32 v1, 2, v1
	s_or_b64 vcc, s[0:1], vcc
	v_addc_co_u32_e32 v1, vcc, 0, v1, vcc
	v_cmp_gt_i32_e32 vcc, 31, v9
	v_lshrrev_b32_e32 v13, 16, v17
	v_cndmask_b32_e32 v12, v6, v1, vcc
	s_waitcnt vmcnt(6)
	v_mul_f16_sdwa v1, v13, v15 dst_sel:DWORD dst_unused:UNUSED_PAD src0_sel:DWORD src1_sel:WORD_1
	v_fma_f16 v1, v17, v15, v1
	v_cvt_f32_f16_e32 v1, v1
	v_cmp_ne_u32_e32 vcc, 0, v0
	v_cndmask_b32_e64 v0, 0, 1, vcc
	v_lshl_or_b32 v14, v0, 9, v6
	v_cvt_f64_f32_e32 v[0:1], v1
	v_mad_u64_u32 v[4:5], s[0:1], s8, 24, v[4:5]
	v_cmp_eq_u32_e32 vcc, s16, v9
	v_mul_f64 v[0:1], v[0:1], s[14:15]
	v_cndmask_b32_e32 v9, v12, v14, vcc
	v_lshrrev_b32_e32 v10, 16, v10
	v_and_or_b32 v9, v10, s10, v9
	v_and_b32_e32 v10, 0xffff, v11
	s_mul_i32 s4, s9, 24
	v_lshl_or_b32 v9, v9, 16, v10
	v_add_u32_e32 v5, s4, v5
	v_and_or_b32 v0, v1, s18, v0
	v_cmp_ne_u32_e32 vcc, 0, v0
	global_store_dword v[4:5], v9, off
	v_cndmask_b32_e64 v0, 0, 1, vcc
	v_lshrrev_b32_e32 v9, 8, v1
	v_bfe_u32 v10, v1, 20, 11
	v_and_or_b32 v0, v9, s17, v0
	v_sub_u32_e32 v11, 0x3f1, v10
	v_or_b32_e32 v9, 0x1000, v0
	v_med3_i32 v11, v11, 0, 13
	v_lshrrev_b32_e32 v12, v11, v9
	v_lshlrev_b32_e32 v11, v11, v12
	v_cmp_ne_u32_e32 vcc, v11, v9
	v_cndmask_b32_e64 v9, 0, 1, vcc
	v_or_b32_e32 v9, v12, v9
	v_mul_f16_sdwa v12, v17, v15 dst_sel:DWORD dst_unused:UNUSED_PAD src0_sel:DWORD src1_sel:WORD_1
	v_fma_f16 v12, v15, v13, -v12
	v_add_u32_e32 v11, 0xfffffc10, v10
	v_cvt_f32_f16_e32 v12, v12
	v_lshl_or_b32 v10, v11, 12, v0
	v_cmp_gt_i32_e32 vcc, 1, v11
	v_cndmask_b32_e32 v9, v10, v9, vcc
	v_and_b32_e32 v10, 7, v9
	v_cmp_lt_i32_e32 vcc, 5, v10
	v_cmp_eq_u32_e64 s[0:1], 3, v10
	v_lshrrev_b32_e32 v13, 2, v9
	v_cvt_f64_f32_e32 v[9:10], v12
	s_or_b64 vcc, s[0:1], vcc
	v_addc_co_u32_e32 v12, vcc, 0, v13, vcc
	v_mul_f64 v[9:10], v[9:10], s[14:15]
	v_cmp_gt_i32_e32 vcc, 31, v11
	v_cndmask_b32_e32 v12, v6, v12, vcc
	v_cmp_ne_u32_e32 vcc, 0, v0
	v_cndmask_b32_e64 v0, 0, 1, vcc
	v_lshl_or_b32 v0, v0, 9, v6
	v_cmp_eq_u32_e32 vcc, s16, v11
	v_cndmask_b32_e32 v0, v12, v0, vcc
	v_lshrrev_b32_e32 v1, 16, v1
	v_and_or_b32 v11, v1, s10, v0
	v_and_or_b32 v0, v10, s18, v9
	v_cmp_ne_u32_e32 vcc, 0, v0
	v_cndmask_b32_e64 v0, 0, 1, vcc
	v_lshrrev_b32_e32 v1, 8, v10
	v_and_or_b32 v9, v1, s17, v0
	v_bfe_u32 v1, v10, 20, 11
	v_sub_u32_e32 v12, 0x3f1, v1
	v_or_b32_e32 v0, 0x1000, v9
	v_med3_i32 v12, v12, 0, 13
	v_lshrrev_b32_e32 v13, v12, v0
	v_lshlrev_b32_e32 v12, v12, v13
	v_cmp_ne_u32_e32 vcc, v12, v0
	v_cndmask_b32_e64 v0, 0, 1, vcc
	v_add_u32_e32 v12, 0xfffffc10, v1
	v_or_b32_e32 v0, v13, v0
	v_lshl_or_b32 v1, v12, 12, v9
	v_cmp_gt_i32_e32 vcc, 1, v12
	v_cndmask_b32_e32 v0, v1, v0, vcc
	v_and_b32_e32 v1, 7, v0
	v_cmp_lt_i32_e32 vcc, 5, v1
	v_cmp_eq_u32_e64 s[0:1], 3, v1
	v_lshrrev_b32_e32 v0, 2, v0
	s_or_b64 vcc, s[0:1], vcc
	v_addc_co_u32_e32 v13, vcc, 0, v0, vcc
	v_cmp_gt_i32_e32 vcc, 31, v12
	v_cndmask_b32_e32 v13, v6, v13, vcc
	v_cmp_ne_u32_e32 vcc, 0, v9
	v_cndmask_b32_e64 v9, 0, 1, vcc
	v_lshl_or_b32 v9, v9, 9, v6
	v_cmp_eq_u32_e32 vcc, s16, v12
	v_cndmask_b32_e32 v12, v13, v9, vcc
	v_lshrrev_b32_e32 v13, 16, v10
	v_and_or_b32 v12, v13, s10, v12
	v_and_b32_e32 v11, 0xffff, v11
	v_lshl_or_b32 v11, v12, 16, v11
	global_load_dword v12, v24, s[6:7] offset:96
	ds_read2_b32 v[0:1], v7 offset0:21 offset1:24
	v_mov_b32_e32 v13, s2
	v_add_co_u32_e32 v4, vcc, s3, v4
	v_addc_co_u32_e32 v5, vcc, v5, v13, vcc
	s_waitcnt lgkmcnt(0)
	v_lshrrev_b32_e32 v14, 16, v0
	s_waitcnt vmcnt(7)
	v_mul_f16_sdwa v15, v14, v8 dst_sel:DWORD dst_unused:UNUSED_PAD src0_sel:DWORD src1_sel:WORD_1
	v_fma_f16 v15, v0, v8, v15
	v_cvt_f32_f16_e32 v15, v15
	global_store_dword v[4:5], v11, off
	v_mul_f16_sdwa v0, v0, v8 dst_sel:DWORD dst_unused:UNUSED_PAD src0_sel:DWORD src1_sel:WORD_1
	v_fma_f16 v0, v8, v14, -v0
	v_cvt_f64_f32_e32 v[9:10], v15
	v_cvt_f32_f16_e32 v0, v0
	v_mul_f64 v[9:10], v[9:10], s[14:15]
	v_and_or_b32 v9, v10, s18, v9
	v_cmp_ne_u32_e32 vcc, 0, v9
	v_cndmask_b32_e64 v9, 0, 1, vcc
	v_lshrrev_b32_e32 v11, 8, v10
	v_bfe_u32 v13, v10, 20, 11
	v_and_or_b32 v11, v11, s17, v9
	v_sub_u32_e32 v15, 0x3f1, v13
	v_or_b32_e32 v9, 0x1000, v11
	v_med3_i32 v15, v15, 0, 13
	v_lshrrev_b32_e32 v16, v15, v9
	v_lshlrev_b32_e32 v15, v15, v16
	v_cmp_ne_u32_e32 vcc, v15, v9
	v_cndmask_b32_e64 v9, 0, 1, vcc
	v_add_u32_e32 v13, 0xfffffc10, v13
	v_or_b32_e32 v9, v16, v9
	v_lshl_or_b32 v15, v13, 12, v11
	v_cmp_gt_i32_e32 vcc, 1, v13
	v_cndmask_b32_e32 v9, v15, v9, vcc
	v_and_b32_e32 v15, 7, v9
	v_lshrrev_b32_e32 v14, 2, v9
	v_cvt_f64_f32_e32 v[8:9], v0
	v_cmp_lt_i32_e32 vcc, 5, v15
	v_cmp_eq_u32_e64 s[0:1], 3, v15
	s_or_b64 vcc, s[0:1], vcc
	v_mul_f64 v[8:9], v[8:9], s[14:15]
	v_addc_co_u32_e32 v0, vcc, 0, v14, vcc
	v_cmp_gt_i32_e32 vcc, 31, v13
	v_cndmask_b32_e32 v0, v6, v0, vcc
	v_cmp_ne_u32_e32 vcc, 0, v11
	v_cndmask_b32_e64 v11, 0, 1, vcc
	v_lshl_or_b32 v11, v11, 9, v6
	v_cmp_eq_u32_e32 vcc, s16, v13
	v_and_or_b32 v8, v9, s18, v8
	v_cndmask_b32_e32 v0, v0, v11, vcc
	v_lshrrev_b32_e32 v10, 16, v10
	v_cmp_ne_u32_e32 vcc, 0, v8
	v_and_or_b32 v0, v10, s10, v0
	v_cndmask_b32_e64 v8, 0, 1, vcc
	v_lshrrev_b32_e32 v10, 8, v9
	v_bfe_u32 v11, v9, 20, 11
	v_and_or_b32 v8, v10, s17, v8
	v_sub_u32_e32 v13, 0x3f1, v11
	v_or_b32_e32 v10, 0x1000, v8
	v_med3_i32 v13, v13, 0, 13
	v_lshrrev_b32_e32 v14, v13, v10
	v_lshlrev_b32_e32 v13, v13, v14
	v_cmp_ne_u32_e32 vcc, v13, v10
	v_cndmask_b32_e64 v10, 0, 1, vcc
	v_or_b32_e32 v10, v14, v10
	global_load_dword v14, v24, s[6:7] offset:108
	global_load_dword v15, v24, s[6:7] offset:120
	;; [unrolled: 1-line block ×4, first 2 shown]
	v_add_u32_e32 v11, 0xfffffc10, v11
	v_lshl_or_b32 v13, v11, 12, v8
	v_cmp_gt_i32_e32 vcc, 1, v11
	v_cndmask_b32_e32 v10, v13, v10, vcc
	v_and_b32_e32 v13, 7, v10
	v_cmp_lt_i32_e32 vcc, 5, v13
	v_cmp_eq_u32_e64 s[0:1], 3, v13
	v_lshrrev_b32_e32 v13, 16, v1
	v_lshrrev_b32_e32 v10, 2, v10
	s_or_b64 vcc, s[0:1], vcc
	s_waitcnt vmcnt(5)
	v_mul_f16_sdwa v18, v13, v12 dst_sel:DWORD dst_unused:UNUSED_PAD src0_sel:DWORD src1_sel:WORD_1
	v_addc_co_u32_e32 v10, vcc, 0, v10, vcc
	v_fma_f16 v18, v1, v12, v18
	v_cmp_gt_i32_e32 vcc, 31, v11
	v_cvt_f32_f16_e32 v18, v18
	v_cndmask_b32_e32 v10, v6, v10, vcc
	v_cmp_ne_u32_e32 vcc, 0, v8
	v_cndmask_b32_e64 v8, 0, 1, vcc
	v_lshl_or_b32 v8, v8, 9, v6
	v_cmp_eq_u32_e32 vcc, s16, v11
	v_cndmask_b32_e32 v8, v10, v8, vcc
	v_cvt_f64_f32_e32 v[10:11], v18
	v_lshrrev_b32_e32 v9, 16, v9
	v_and_or_b32 v18, v9, s10, v8
	v_and_b32_e32 v0, 0xffff, v0
	v_mul_f64 v[8:9], v[10:11], s[14:15]
	v_mov_b32_e32 v10, s2
	v_add_co_u32_e32 v4, vcc, s3, v4
	v_lshl_or_b32 v0, v18, 16, v0
	v_addc_co_u32_e32 v5, vcc, v5, v10, vcc
	global_store_dword v[4:5], v0, off
	v_and_or_b32 v0, v9, s18, v8
	v_cmp_ne_u32_e32 vcc, 0, v0
	v_cndmask_b32_e64 v0, 0, 1, vcc
	v_lshrrev_b32_e32 v8, 8, v9
	v_bfe_u32 v10, v9, 20, 11
	v_and_or_b32 v8, v8, s17, v0
	v_sub_u32_e32 v11, 0x3f1, v10
	v_or_b32_e32 v0, 0x1000, v8
	v_med3_i32 v11, v11, 0, 13
	v_lshrrev_b32_e32 v18, v11, v0
	v_lshlrev_b32_e32 v11, v11, v18
	v_mul_f16_sdwa v1, v1, v12 dst_sel:DWORD dst_unused:UNUSED_PAD src0_sel:DWORD src1_sel:WORD_1
	v_cmp_ne_u32_e32 vcc, v11, v0
	v_fma_f16 v1, v12, v13, -v1
	v_cndmask_b32_e64 v0, 0, 1, vcc
	v_add_u32_e32 v10, 0xfffffc10, v10
	v_cvt_f32_f16_e32 v1, v1
	v_or_b32_e32 v0, v18, v0
	v_lshl_or_b32 v11, v10, 12, v8
	v_cmp_gt_i32_e32 vcc, 1, v10
	v_cndmask_b32_e32 v0, v11, v0, vcc
	v_and_b32_e32 v11, 7, v0
	v_cmp_lt_i32_e32 vcc, 5, v11
	v_cmp_eq_u32_e64 s[0:1], 3, v11
	v_lshrrev_b32_e32 v11, 2, v0
	v_cvt_f64_f32_e32 v[0:1], v1
	s_or_b64 vcc, s[0:1], vcc
	v_addc_co_u32_e32 v11, vcc, 0, v11, vcc
	v_mul_f64 v[0:1], v[0:1], s[14:15]
	v_cmp_gt_i32_e32 vcc, 31, v10
	v_cndmask_b32_e32 v11, v6, v11, vcc
	v_cmp_ne_u32_e32 vcc, 0, v8
	v_cndmask_b32_e64 v8, 0, 1, vcc
	v_lshl_or_b32 v8, v8, 9, v6
	v_cmp_eq_u32_e32 vcc, s16, v10
	v_cndmask_b32_e32 v8, v11, v8, vcc
	v_and_or_b32 v0, v1, s18, v0
	v_lshrrev_b32_e32 v9, 16, v9
	v_cmp_ne_u32_e32 vcc, 0, v0
	v_and_or_b32 v18, v9, s10, v8
	v_cndmask_b32_e64 v0, 0, 1, vcc
	v_lshrrev_b32_e32 v8, 8, v1
	v_bfe_u32 v9, v1, 20, 11
	v_and_or_b32 v0, v8, s17, v0
	v_sub_u32_e32 v10, 0x3f1, v9
	v_or_b32_e32 v8, 0x1000, v0
	v_med3_i32 v10, v10, 0, 13
	v_lshrrev_b32_e32 v11, v10, v8
	v_lshlrev_b32_e32 v10, v10, v11
	v_cmp_ne_u32_e32 vcc, v10, v8
	v_cndmask_b32_e64 v8, 0, 1, vcc
	v_add_u32_e32 v12, 0xfffffc10, v9
	v_or_b32_e32 v8, v11, v8
	v_lshl_or_b32 v9, v12, 12, v0
	v_cmp_gt_i32_e32 vcc, 1, v12
	v_cndmask_b32_e32 v8, v9, v8, vcc
	v_and_b32_e32 v9, 7, v8
	v_cmp_lt_i32_e32 vcc, 5, v9
	v_cmp_eq_u32_e64 s[0:1], 3, v9
	v_lshrrev_b32_e32 v8, 2, v8
	s_or_b64 vcc, s[0:1], vcc
	v_addc_co_u32_e32 v8, vcc, 0, v8, vcc
	ds_read2_b32 v[10:11], v7 offset0:27 offset1:30
	v_cmp_gt_i32_e32 vcc, 31, v12
	v_cndmask_b32_e32 v13, v6, v8, vcc
	v_mad_u64_u32 v[8:9], s[0:1], s8, v23, 0
	v_cmp_ne_u32_e32 vcc, 0, v0
	v_cndmask_b32_e64 v0, 0, 1, vcc
	v_lshl_or_b32 v0, v0, 9, v6
	v_cmp_eq_u32_e32 vcc, s16, v12
	s_waitcnt lgkmcnt(0)
	v_lshrrev_b32_e32 v20, 16, v10
	v_cndmask_b32_e32 v19, v13, v0, vcc
	v_mov_b32_e32 v0, v9
	s_waitcnt vmcnt(4)
	v_mul_f16_sdwa v9, v20, v14 dst_sel:DWORD dst_unused:UNUSED_PAD src0_sel:DWORD src1_sel:WORD_1
	v_fma_f16 v9, v10, v14, v9
	v_cvt_f32_f16_e32 v9, v9
	v_mad_u64_u32 v[12:13], s[0:1], s9, v23, v[0:1]
	v_lshrrev_b32_e32 v13, 16, v1
	v_cvt_f64_f32_e32 v[0:1], v9
	v_mov_b32_e32 v9, v12
	v_lshlrev_b64 v[8:9], 2, v[8:9]
	v_and_or_b32 v13, v13, s10, v19
	v_mul_f64 v[0:1], v[0:1], s[14:15]
	v_add_co_u32_e32 v8, vcc, v2, v8
	v_and_b32_e32 v12, 0xffff, v18
	v_addc_co_u32_e32 v9, vcc, v3, v9, vcc
	v_lshl_or_b32 v12, v13, 16, v12
	global_store_dword v[8:9], v12, off
	v_and_or_b32 v0, v1, s18, v0
	v_cmp_ne_u32_e32 vcc, 0, v0
	v_cndmask_b32_e64 v0, 0, 1, vcc
	v_lshrrev_b32_e32 v8, 8, v1
	v_bfe_u32 v9, v1, 20, 11
	v_and_or_b32 v0, v8, s17, v0
	v_sub_u32_e32 v12, 0x3f1, v9
	v_or_b32_e32 v8, 0x1000, v0
	v_med3_i32 v12, v12, 0, 13
	v_lshrrev_b32_e32 v13, v12, v8
	v_lshlrev_b32_e32 v12, v12, v13
	v_mul_f16_sdwa v10, v10, v14 dst_sel:DWORD dst_unused:UNUSED_PAD src0_sel:DWORD src1_sel:WORD_1
	v_cmp_ne_u32_e32 vcc, v12, v8
	v_fma_f16 v10, v14, v20, -v10
	v_cndmask_b32_e64 v8, 0, 1, vcc
	v_add_u32_e32 v12, 0xfffffc10, v9
	v_cvt_f32_f16_e32 v10, v10
	v_or_b32_e32 v8, v13, v8
	v_lshl_or_b32 v9, v12, 12, v0
	v_cmp_gt_i32_e32 vcc, 1, v12
	v_cndmask_b32_e32 v8, v9, v8, vcc
	v_and_b32_e32 v9, 7, v8
	v_cmp_lt_i32_e32 vcc, 5, v9
	v_cmp_eq_u32_e64 s[0:1], 3, v9
	v_lshrrev_b32_e32 v13, 2, v8
	v_cvt_f64_f32_e32 v[8:9], v10
	s_or_b64 vcc, s[0:1], vcc
	v_addc_co_u32_e32 v10, vcc, 0, v13, vcc
	v_mul_f64 v[8:9], v[8:9], s[14:15]
	v_cmp_gt_i32_e32 vcc, 31, v12
	v_cndmask_b32_e32 v10, v6, v10, vcc
	v_cmp_ne_u32_e32 vcc, 0, v0
	v_cndmask_b32_e64 v0, 0, 1, vcc
	v_lshl_or_b32 v0, v0, 9, v6
	v_cmp_eq_u32_e32 vcc, s16, v12
	v_cndmask_b32_e32 v0, v10, v0, vcc
	v_lshrrev_b32_e32 v1, 16, v1
	v_and_or_b32 v10, v1, s10, v0
	v_and_or_b32 v0, v9, s18, v8
	v_cmp_ne_u32_e32 vcc, 0, v0
	v_cndmask_b32_e64 v0, 0, 1, vcc
	v_lshrrev_b32_e32 v1, 8, v9
	v_bfe_u32 v8, v9, 20, 11
	v_and_or_b32 v0, v1, s17, v0
	v_sub_u32_e32 v12, 0x3f1, v8
	v_or_b32_e32 v1, 0x1000, v0
	v_med3_i32 v12, v12, 0, 13
	v_lshrrev_b32_e32 v13, v12, v1
	v_lshlrev_b32_e32 v12, v12, v13
	v_cmp_ne_u32_e32 vcc, v12, v1
	v_cndmask_b32_e64 v1, 0, 1, vcc
	v_add_u32_e32 v8, 0xfffffc10, v8
	v_or_b32_e32 v1, v13, v1
	v_lshl_or_b32 v12, v8, 12, v0
	v_cmp_gt_i32_e32 vcc, 1, v8
	v_cndmask_b32_e32 v1, v12, v1, vcc
	v_and_b32_e32 v12, 7, v1
	v_cmp_lt_i32_e32 vcc, 5, v12
	v_cmp_eq_u32_e64 s[0:1], 3, v12
	v_lshrrev_b32_e32 v1, 2, v1
	s_or_b64 vcc, s[0:1], vcc
	v_addc_co_u32_e32 v1, vcc, 0, v1, vcc
	v_cmp_gt_i32_e32 vcc, 31, v8
	v_lshrrev_b32_e32 v13, 16, v11
	v_cndmask_b32_e32 v12, v6, v1, vcc
	s_waitcnt vmcnt(4)
	v_mul_f16_sdwa v1, v13, v15 dst_sel:DWORD dst_unused:UNUSED_PAD src0_sel:DWORD src1_sel:WORD_1
	v_fma_f16 v1, v11, v15, v1
	v_cvt_f32_f16_e32 v1, v1
	v_cmp_ne_u32_e32 vcc, 0, v0
	v_cndmask_b32_e64 v0, 0, 1, vcc
	v_lshl_or_b32 v14, v0, 9, v6
	v_cvt_f64_f32_e32 v[0:1], v1
	v_mad_u64_u32 v[4:5], s[0:1], s8, 24, v[4:5]
	v_cmp_eq_u32_e32 vcc, s16, v8
	v_mul_f64 v[0:1], v[0:1], s[14:15]
	v_cndmask_b32_e32 v8, v12, v14, vcc
	v_lshrrev_b32_e32 v9, 16, v9
	v_and_or_b32 v8, v9, s10, v8
	v_and_b32_e32 v9, 0xffff, v10
	v_lshl_or_b32 v8, v8, 16, v9
	v_add_u32_e32 v5, s4, v5
	global_store_dword v[4:5], v8, off
	v_and_or_b32 v0, v1, s18, v0
	v_cmp_ne_u32_e32 vcc, 0, v0
	v_cndmask_b32_e64 v0, 0, 1, vcc
	v_lshrrev_b32_e32 v8, 8, v1
	v_bfe_u32 v9, v1, 20, 11
	v_and_or_b32 v0, v8, s17, v0
	v_sub_u32_e32 v10, 0x3f1, v9
	v_or_b32_e32 v8, 0x1000, v0
	v_med3_i32 v10, v10, 0, 13
	v_lshrrev_b32_e32 v12, v10, v8
	v_lshlrev_b32_e32 v10, v10, v12
	v_mul_f16_sdwa v11, v11, v15 dst_sel:DWORD dst_unused:UNUSED_PAD src0_sel:DWORD src1_sel:WORD_1
	v_cmp_ne_u32_e32 vcc, v10, v8
	v_fma_f16 v11, v15, v13, -v11
	v_cndmask_b32_e64 v8, 0, 1, vcc
	v_add_u32_e32 v10, 0xfffffc10, v9
	v_cvt_f32_f16_e32 v11, v11
	v_or_b32_e32 v8, v12, v8
	v_lshl_or_b32 v9, v10, 12, v0
	v_cmp_gt_i32_e32 vcc, 1, v10
	v_cndmask_b32_e32 v8, v9, v8, vcc
	v_and_b32_e32 v9, 7, v8
	v_cmp_lt_i32_e32 vcc, 5, v9
	v_cmp_eq_u32_e64 s[0:1], 3, v9
	v_lshrrev_b32_e32 v12, 2, v8
	v_cvt_f64_f32_e32 v[8:9], v11
	s_or_b64 vcc, s[0:1], vcc
	v_addc_co_u32_e32 v11, vcc, 0, v12, vcc
	v_mul_f64 v[8:9], v[8:9], s[14:15]
	v_cmp_gt_i32_e32 vcc, 31, v10
	v_cndmask_b32_e32 v11, v6, v11, vcc
	v_cmp_ne_u32_e32 vcc, 0, v0
	v_cndmask_b32_e64 v0, 0, 1, vcc
	v_lshl_or_b32 v0, v0, 9, v6
	v_cmp_eq_u32_e32 vcc, s16, v10
	v_cndmask_b32_e32 v0, v11, v0, vcc
	v_lshrrev_b32_e32 v1, 16, v1
	v_and_or_b32 v10, v1, s10, v0
	v_and_or_b32 v0, v9, s18, v8
	v_cmp_ne_u32_e32 vcc, 0, v0
	v_cndmask_b32_e64 v0, 0, 1, vcc
	v_lshrrev_b32_e32 v1, 8, v9
	v_and_or_b32 v8, v1, s17, v0
	v_bfe_u32 v1, v9, 20, 11
	v_sub_u32_e32 v11, 0x3f1, v1
	v_or_b32_e32 v0, 0x1000, v8
	v_med3_i32 v11, v11, 0, 13
	v_lshrrev_b32_e32 v12, v11, v0
	v_lshlrev_b32_e32 v11, v11, v12
	v_cmp_ne_u32_e32 vcc, v11, v0
	v_cndmask_b32_e64 v0, 0, 1, vcc
	v_add_u32_e32 v11, 0xfffffc10, v1
	v_or_b32_e32 v0, v12, v0
	v_lshl_or_b32 v1, v11, 12, v8
	v_cmp_gt_i32_e32 vcc, 1, v11
	v_cndmask_b32_e32 v0, v1, v0, vcc
	v_and_b32_e32 v1, 7, v0
	v_cmp_lt_i32_e32 vcc, 5, v1
	v_cmp_eq_u32_e64 s[0:1], 3, v1
	v_lshrrev_b32_e32 v0, 2, v0
	s_or_b64 vcc, s[0:1], vcc
	v_addc_co_u32_e32 v12, vcc, 0, v0, vcc
	ds_read2_b32 v[0:1], v7 offset0:33 offset1:36
	v_cmp_gt_i32_e32 vcc, 31, v11
	v_cndmask_b32_e32 v7, v6, v12, vcc
	v_cmp_ne_u32_e32 vcc, 0, v8
	v_cndmask_b32_e64 v8, 0, 1, vcc
	s_waitcnt lgkmcnt(0)
	v_lshrrev_b32_e32 v12, 16, v0
	s_waitcnt vmcnt(4)
	v_mul_f16_sdwa v13, v12, v16 dst_sel:DWORD dst_unused:UNUSED_PAD src0_sel:DWORD src1_sel:WORD_1
	v_fma_f16 v13, v0, v16, v13
	v_cvt_f32_f16_e32 v13, v13
	v_lshl_or_b32 v8, v8, 9, v6
	v_cmp_eq_u32_e32 vcc, s16, v11
	v_cndmask_b32_e32 v11, v7, v8, vcc
	v_cvt_f64_f32_e32 v[7:8], v13
	v_lshrrev_b32_e32 v9, 16, v9
	v_and_or_b32 v9, v9, s10, v11
	v_and_b32_e32 v10, 0xffff, v10
	v_mul_f64 v[7:8], v[7:8], s[14:15]
	v_lshl_or_b32 v9, v9, 16, v10
	v_mov_b32_e32 v10, s2
	v_add_co_u32_e32 v4, vcc, s3, v4
	v_addc_co_u32_e32 v5, vcc, v5, v10, vcc
	global_store_dword v[4:5], v9, off
	v_and_or_b32 v7, v8, s18, v7
	v_cmp_ne_u32_e32 vcc, 0, v7
	v_cndmask_b32_e64 v7, 0, 1, vcc
	v_lshrrev_b32_e32 v9, 8, v8
	v_bfe_u32 v10, v8, 20, 11
	v_and_or_b32 v7, v9, s17, v7
	v_sub_u32_e32 v11, 0x3f1, v10
	v_or_b32_e32 v9, 0x1000, v7
	v_med3_i32 v11, v11, 0, 13
	v_lshrrev_b32_e32 v13, v11, v9
	v_lshlrev_b32_e32 v11, v11, v13
	v_mul_f16_sdwa v0, v0, v16 dst_sel:DWORD dst_unused:UNUSED_PAD src0_sel:DWORD src1_sel:WORD_1
	v_cmp_ne_u32_e32 vcc, v11, v9
	v_fma_f16 v0, v16, v12, -v0
	v_cndmask_b32_e64 v9, 0, 1, vcc
	v_add_u32_e32 v11, 0xfffffc10, v10
	v_cvt_f32_f16_e32 v0, v0
	v_or_b32_e32 v9, v13, v9
	v_lshl_or_b32 v10, v11, 12, v7
	v_cmp_gt_i32_e32 vcc, 1, v11
	v_cndmask_b32_e32 v9, v10, v9, vcc
	v_and_b32_e32 v10, 7, v9
	v_cmp_lt_i32_e32 vcc, 5, v10
	v_cmp_eq_u32_e64 s[0:1], 3, v10
	v_lshrrev_b32_e32 v12, 2, v9
	v_cvt_f64_f32_e32 v[9:10], v0
	s_or_b64 vcc, s[0:1], vcc
	v_addc_co_u32_e32 v0, vcc, 0, v12, vcc
	v_mul_f64 v[9:10], v[9:10], s[14:15]
	v_cmp_gt_i32_e32 vcc, 31, v11
	v_cndmask_b32_e32 v0, v6, v0, vcc
	v_cmp_ne_u32_e32 vcc, 0, v7
	v_cndmask_b32_e64 v7, 0, 1, vcc
	v_lshl_or_b32 v7, v7, 9, v6
	v_cmp_eq_u32_e32 vcc, s16, v11
	v_cndmask_b32_e32 v0, v0, v7, vcc
	v_lshrrev_b32_e32 v7, 16, v8
	v_and_or_b32 v0, v7, s10, v0
	v_and_or_b32 v7, v10, s18, v9
	v_cmp_ne_u32_e32 vcc, 0, v7
	v_cndmask_b32_e64 v7, 0, 1, vcc
	v_lshrrev_b32_e32 v8, 8, v10
	v_bfe_u32 v9, v10, 20, 11
	v_and_or_b32 v7, v8, s17, v7
	v_sub_u32_e32 v11, 0x3f1, v9
	v_or_b32_e32 v8, 0x1000, v7
	v_med3_i32 v11, v11, 0, 13
	v_lshrrev_b32_e32 v12, v11, v8
	v_lshlrev_b32_e32 v11, v11, v12
	v_cmp_ne_u32_e32 vcc, v11, v8
	v_cndmask_b32_e64 v8, 0, 1, vcc
	v_add_u32_e32 v9, 0xfffffc10, v9
	v_or_b32_e32 v8, v12, v8
	v_lshl_or_b32 v11, v9, 12, v7
	v_cmp_gt_i32_e32 vcc, 1, v9
	v_cndmask_b32_e32 v8, v11, v8, vcc
	v_and_b32_e32 v11, 7, v8
	v_cmp_lt_i32_e32 vcc, 5, v11
	v_cmp_eq_u32_e64 s[0:1], 3, v11
	v_lshrrev_b32_e32 v11, 16, v1
	v_lshrrev_b32_e32 v8, 2, v8
	s_or_b64 vcc, s[0:1], vcc
	s_waitcnt vmcnt(4)
	v_mul_f16_sdwa v12, v11, v17 dst_sel:DWORD dst_unused:UNUSED_PAD src0_sel:DWORD src1_sel:WORD_1
	v_addc_co_u32_e32 v8, vcc, 0, v8, vcc
	v_fma_f16 v12, v1, v17, v12
	v_cmp_gt_i32_e32 vcc, 31, v9
	v_cvt_f32_f16_e32 v12, v12
	v_cndmask_b32_e32 v8, v6, v8, vcc
	v_cmp_ne_u32_e32 vcc, 0, v7
	v_cndmask_b32_e64 v7, 0, 1, vcc
	v_lshl_or_b32 v7, v7, 9, v6
	v_cmp_eq_u32_e32 vcc, s16, v9
	v_cndmask_b32_e32 v9, v8, v7, vcc
	v_cvt_f64_f32_e32 v[7:8], v12
	v_lshrrev_b32_e32 v10, 16, v10
	v_and_or_b32 v9, v10, s10, v9
	v_and_b32_e32 v0, 0xffff, v0
	v_mul_f64 v[7:8], v[7:8], s[14:15]
	v_lshl_or_b32 v0, v9, 16, v0
	v_mov_b32_e32 v9, s2
	v_add_co_u32_e32 v4, vcc, s3, v4
	v_addc_co_u32_e32 v5, vcc, v5, v9, vcc
	global_store_dword v[4:5], v0, off
	v_and_or_b32 v0, v8, s18, v7
	v_cmp_ne_u32_e32 vcc, 0, v0
	v_cndmask_b32_e64 v0, 0, 1, vcc
	v_lshrrev_b32_e32 v4, 8, v8
	v_bfe_u32 v5, v8, 20, 11
	v_and_or_b32 v4, v4, s17, v0
	v_sub_u32_e32 v7, 0x3f1, v5
	v_or_b32_e32 v0, 0x1000, v4
	v_med3_i32 v7, v7, 0, 13
	v_lshrrev_b32_e32 v9, v7, v0
	v_lshlrev_b32_e32 v7, v7, v9
	v_mul_f16_sdwa v1, v1, v17 dst_sel:DWORD dst_unused:UNUSED_PAD src0_sel:DWORD src1_sel:WORD_1
	v_cmp_ne_u32_e32 vcc, v7, v0
	v_fma_f16 v1, v17, v11, -v1
	v_cndmask_b32_e64 v0, 0, 1, vcc
	v_add_u32_e32 v5, 0xfffffc10, v5
	v_cvt_f32_f16_e32 v1, v1
	v_or_b32_e32 v0, v9, v0
	v_lshl_or_b32 v7, v5, 12, v4
	v_cmp_gt_i32_e32 vcc, 1, v5
	v_cndmask_b32_e32 v0, v7, v0, vcc
	v_and_b32_e32 v7, 7, v0
	v_cmp_lt_i32_e32 vcc, 5, v7
	v_cmp_eq_u32_e64 s[0:1], 3, v7
	v_lshrrev_b32_e32 v7, 2, v0
	v_cvt_f64_f32_e32 v[0:1], v1
	s_or_b64 vcc, s[0:1], vcc
	v_addc_co_u32_e32 v7, vcc, 0, v7, vcc
	v_mul_f64 v[0:1], v[0:1], s[14:15]
	v_cmp_gt_i32_e32 vcc, 31, v5
	v_cndmask_b32_e32 v7, v6, v7, vcc
	v_cmp_ne_u32_e32 vcc, 0, v4
	v_cndmask_b32_e64 v4, 0, 1, vcc
	v_lshl_or_b32 v4, v4, 9, v6
	v_cmp_eq_u32_e32 vcc, s16, v5
	v_cndmask_b32_e32 v4, v7, v4, vcc
	v_and_or_b32 v0, v1, s18, v0
	v_lshrrev_b32_e32 v5, 16, v8
	v_cmp_ne_u32_e32 vcc, 0, v0
	v_and_or_b32 v7, v5, s10, v4
	v_cndmask_b32_e64 v0, 0, 1, vcc
	v_lshrrev_b32_e32 v4, 8, v1
	v_bfe_u32 v5, v1, 20, 11
	v_and_or_b32 v0, v4, s17, v0
	v_sub_u32_e32 v8, 0x3f1, v5
	v_or_b32_e32 v4, 0x1000, v0
	v_med3_i32 v8, v8, 0, 13
	v_lshrrev_b32_e32 v9, v8, v4
	v_lshlrev_b32_e32 v8, v8, v9
	v_cmp_ne_u32_e32 vcc, v8, v4
	v_cndmask_b32_e64 v4, 0, 1, vcc
	v_add_u32_e32 v8, 0xfffffc10, v5
	v_or_b32_e32 v4, v9, v4
	v_lshl_or_b32 v5, v8, 12, v0
	v_cmp_gt_i32_e32 vcc, 1, v8
	v_cndmask_b32_e32 v4, v5, v4, vcc
	v_and_b32_e32 v5, 7, v4
	v_cmp_lt_i32_e32 vcc, 5, v5
	v_cmp_eq_u32_e64 s[0:1], 3, v5
	v_lshrrev_b32_e32 v4, 2, v4
	s_or_b64 vcc, s[0:1], vcc
	v_addc_co_u32_e32 v4, vcc, 0, v4, vcc
	v_cmp_gt_i32_e32 vcc, 31, v8
	v_cndmask_b32_e32 v9, v6, v4, vcc
	v_mad_u64_u32 v[4:5], s[0:1], s8, v22, 0
	v_cmp_ne_u32_e32 vcc, 0, v0
	v_cndmask_b32_e64 v0, 0, 1, vcc
	v_lshl_or_b32 v10, v0, 9, v6
	v_mov_b32_e32 v0, v5
	v_mad_u64_u32 v[5:6], s[0:1], s9, v22, v[0:1]
	v_cmp_eq_u32_e32 vcc, s16, v8
	v_cndmask_b32_e32 v0, v9, v10, vcc
	v_lshrrev_b32_e32 v1, 16, v1
	v_and_or_b32 v0, v1, s10, v0
	v_and_b32_e32 v1, 0xffff, v7
	v_lshl_or_b32 v6, v0, 16, v1
	v_lshlrev_b64 v[0:1], 2, v[4:5]
	v_add_co_u32_e32 v0, vcc, v2, v0
	v_addc_co_u32_e32 v1, vcc, v3, v1, vcc
	global_store_dword v[0:1], v6, off
.LBB0_15:
	s_endpgm
	.section	.rodata,"a",@progbits
	.p2align	6, 0x0
	.amdhsa_kernel bluestein_single_back_len39_dim1_half_op_CI_CI
		.amdhsa_group_segment_fixed_size 2964
		.amdhsa_private_segment_fixed_size 0
		.amdhsa_kernarg_size 104
		.amdhsa_user_sgpr_count 6
		.amdhsa_user_sgpr_private_segment_buffer 1
		.amdhsa_user_sgpr_dispatch_ptr 0
		.amdhsa_user_sgpr_queue_ptr 0
		.amdhsa_user_sgpr_kernarg_segment_ptr 1
		.amdhsa_user_sgpr_dispatch_id 0
		.amdhsa_user_sgpr_flat_scratch_init 0
		.amdhsa_user_sgpr_private_segment_size 0
		.amdhsa_uses_dynamic_stack 0
		.amdhsa_system_sgpr_private_segment_wavefront_offset 0
		.amdhsa_system_sgpr_workgroup_id_x 1
		.amdhsa_system_sgpr_workgroup_id_y 0
		.amdhsa_system_sgpr_workgroup_id_z 0
		.amdhsa_system_sgpr_workgroup_info 0
		.amdhsa_system_vgpr_workitem_id 0
		.amdhsa_next_free_vgpr 128
		.amdhsa_next_free_sgpr 26
		.amdhsa_reserve_vcc 1
		.amdhsa_reserve_flat_scratch 0
		.amdhsa_float_round_mode_32 0
		.amdhsa_float_round_mode_16_64 0
		.amdhsa_float_denorm_mode_32 3
		.amdhsa_float_denorm_mode_16_64 3
		.amdhsa_dx10_clamp 1
		.amdhsa_ieee_mode 1
		.amdhsa_fp16_overflow 0
		.amdhsa_exception_fp_ieee_invalid_op 0
		.amdhsa_exception_fp_denorm_src 0
		.amdhsa_exception_fp_ieee_div_zero 0
		.amdhsa_exception_fp_ieee_overflow 0
		.amdhsa_exception_fp_ieee_underflow 0
		.amdhsa_exception_fp_ieee_inexact 0
		.amdhsa_exception_int_div_zero 0
	.end_amdhsa_kernel
	.text
.Lfunc_end0:
	.size	bluestein_single_back_len39_dim1_half_op_CI_CI, .Lfunc_end0-bluestein_single_back_len39_dim1_half_op_CI_CI
                                        ; -- End function
	.section	.AMDGPU.csdata,"",@progbits
; Kernel info:
; codeLenInByte = 15968
; NumSgprs: 30
; NumVgprs: 128
; ScratchSize: 0
; MemoryBound: 0
; FloatMode: 240
; IeeeMode: 1
; LDSByteSize: 2964 bytes/workgroup (compile time only)
; SGPRBlocks: 3
; VGPRBlocks: 31
; NumSGPRsForWavesPerEU: 30
; NumVGPRsForWavesPerEU: 128
; Occupancy: 2
; WaveLimiterHint : 1
; COMPUTE_PGM_RSRC2:SCRATCH_EN: 0
; COMPUTE_PGM_RSRC2:USER_SGPR: 6
; COMPUTE_PGM_RSRC2:TRAP_HANDLER: 0
; COMPUTE_PGM_RSRC2:TGID_X_EN: 1
; COMPUTE_PGM_RSRC2:TGID_Y_EN: 0
; COMPUTE_PGM_RSRC2:TGID_Z_EN: 0
; COMPUTE_PGM_RSRC2:TIDIG_COMP_CNT: 0
	.type	__hip_cuid_dda049c5c02c240,@object ; @__hip_cuid_dda049c5c02c240
	.section	.bss,"aw",@nobits
	.globl	__hip_cuid_dda049c5c02c240
__hip_cuid_dda049c5c02c240:
	.byte	0                               ; 0x0
	.size	__hip_cuid_dda049c5c02c240, 1

	.ident	"AMD clang version 19.0.0git (https://github.com/RadeonOpenCompute/llvm-project roc-6.4.0 25133 c7fe45cf4b819c5991fe208aaa96edf142730f1d)"
	.section	".note.GNU-stack","",@progbits
	.addrsig
	.addrsig_sym __hip_cuid_dda049c5c02c240
	.amdgpu_metadata
---
amdhsa.kernels:
  - .args:
      - .actual_access:  read_only
        .address_space:  global
        .offset:         0
        .size:           8
        .value_kind:     global_buffer
      - .actual_access:  read_only
        .address_space:  global
        .offset:         8
        .size:           8
        .value_kind:     global_buffer
      - .actual_access:  read_only
        .address_space:  global
        .offset:         16
        .size:           8
        .value_kind:     global_buffer
      - .actual_access:  read_only
        .address_space:  global
        .offset:         24
        .size:           8
        .value_kind:     global_buffer
      - .actual_access:  read_only
        .address_space:  global
        .offset:         32
        .size:           8
        .value_kind:     global_buffer
      - .offset:         40
        .size:           8
        .value_kind:     by_value
      - .address_space:  global
        .offset:         48
        .size:           8
        .value_kind:     global_buffer
      - .address_space:  global
        .offset:         56
        .size:           8
        .value_kind:     global_buffer
      - .address_space:  global
        .offset:         64
        .size:           8
        .value_kind:     global_buffer
      - .address_space:  global
        .offset:         72
        .size:           8
        .value_kind:     global_buffer
      - .offset:         80
        .size:           4
        .value_kind:     by_value
      - .address_space:  global
        .offset:         88
        .size:           8
        .value_kind:     global_buffer
      - .address_space:  global
        .offset:         96
        .size:           8
        .value_kind:     global_buffer
    .group_segment_fixed_size: 2964
    .kernarg_segment_align: 8
    .kernarg_segment_size: 104
    .language:       OpenCL C
    .language_version:
      - 2
      - 0
    .max_flat_workgroup_size: 247
    .name:           bluestein_single_back_len39_dim1_half_op_CI_CI
    .private_segment_fixed_size: 0
    .sgpr_count:     30
    .sgpr_spill_count: 0
    .symbol:         bluestein_single_back_len39_dim1_half_op_CI_CI.kd
    .uniform_work_group_size: 1
    .uses_dynamic_stack: false
    .vgpr_count:     128
    .vgpr_spill_count: 0
    .wavefront_size: 64
amdhsa.target:   amdgcn-amd-amdhsa--gfx906
amdhsa.version:
  - 1
  - 2
...

	.end_amdgpu_metadata
